;; amdgpu-corpus repo=ROCm/rocFFT kind=compiled arch=gfx1100 opt=O3
	.text
	.amdgcn_target "amdgcn-amd-amdhsa--gfx1100"
	.amdhsa_code_object_version 6
	.protected	fft_rtc_fwd_len1375_factors_11_5_5_5_wgs_55_tpt_55_halfLds_sp_op_CI_CI_unitstride_sbrr_dirReg ; -- Begin function fft_rtc_fwd_len1375_factors_11_5_5_5_wgs_55_tpt_55_halfLds_sp_op_CI_CI_unitstride_sbrr_dirReg
	.globl	fft_rtc_fwd_len1375_factors_11_5_5_5_wgs_55_tpt_55_halfLds_sp_op_CI_CI_unitstride_sbrr_dirReg
	.p2align	8
	.type	fft_rtc_fwd_len1375_factors_11_5_5_5_wgs_55_tpt_55_halfLds_sp_op_CI_CI_unitstride_sbrr_dirReg,@function
fft_rtc_fwd_len1375_factors_11_5_5_5_wgs_55_tpt_55_halfLds_sp_op_CI_CI_unitstride_sbrr_dirReg: ; @fft_rtc_fwd_len1375_factors_11_5_5_5_wgs_55_tpt_55_halfLds_sp_op_CI_CI_unitstride_sbrr_dirReg
; %bb.0:
	s_clause 0x2
	s_load_b128 s[8:11], s[0:1], 0x0
	s_load_b128 s[4:7], s[0:1], 0x58
	;; [unrolled: 1-line block ×3, first 2 shown]
	v_mul_u32_u24_e32 v1, 0x4a8, v0
	v_mov_b32_e32 v5, 0
	v_mov_b32_e32 v71, 0
	;; [unrolled: 1-line block ×3, first 2 shown]
	s_delay_alu instid0(VALU_DEP_4) | instskip(NEXT) | instid1(VALU_DEP_1)
	v_lshrrev_b32_e32 v1, 16, v1
	v_dual_mov_b32 v8, v5 :: v_dual_add_nc_u32 v7, s15, v1
	s_waitcnt lgkmcnt(0)
	v_cmp_lt_u64_e64 s2, s[10:11], 2
	s_delay_alu instid0(VALU_DEP_1)
	s_and_b32 vcc_lo, exec_lo, s2
	s_cbranch_vccnz .LBB0_8
; %bb.1:
	s_load_b64 s[2:3], s[0:1], 0x10
	v_mov_b32_e32 v71, 0
	v_mov_b32_e32 v72, 0
	s_add_u32 s12, s18, 8
	s_addc_u32 s13, s19, 0
	s_add_u32 s14, s16, 8
	s_delay_alu instid0(VALU_DEP_1)
	v_dual_mov_b32 v1, v71 :: v_dual_mov_b32 v2, v72
	s_addc_u32 s15, s17, 0
	s_mov_b64 s[22:23], 1
	s_waitcnt lgkmcnt(0)
	s_add_u32 s20, s2, 8
	s_addc_u32 s21, s3, 0
.LBB0_2:                                ; =>This Inner Loop Header: Depth=1
	s_load_b64 s[24:25], s[20:21], 0x0
                                        ; implicit-def: $vgpr3_vgpr4
	s_mov_b32 s2, exec_lo
	s_waitcnt lgkmcnt(0)
	v_or_b32_e32 v6, s25, v8
	s_delay_alu instid0(VALU_DEP_1)
	v_cmpx_ne_u64_e32 0, v[5:6]
	s_xor_b32 s3, exec_lo, s2
	s_cbranch_execz .LBB0_4
; %bb.3:                                ;   in Loop: Header=BB0_2 Depth=1
	v_cvt_f32_u32_e32 v3, s24
	v_cvt_f32_u32_e32 v4, s25
	s_sub_u32 s2, 0, s24
	s_subb_u32 s26, 0, s25
	s_delay_alu instid0(VALU_DEP_1) | instskip(NEXT) | instid1(VALU_DEP_1)
	v_fmac_f32_e32 v3, 0x4f800000, v4
	v_rcp_f32_e32 v3, v3
	s_waitcnt_depctr 0xfff
	v_mul_f32_e32 v3, 0x5f7ffffc, v3
	s_delay_alu instid0(VALU_DEP_1) | instskip(NEXT) | instid1(VALU_DEP_1)
	v_mul_f32_e32 v4, 0x2f800000, v3
	v_trunc_f32_e32 v4, v4
	s_delay_alu instid0(VALU_DEP_1) | instskip(SKIP_1) | instid1(VALU_DEP_2)
	v_fmac_f32_e32 v3, 0xcf800000, v4
	v_cvt_u32_f32_e32 v4, v4
	v_cvt_u32_f32_e32 v3, v3
	s_delay_alu instid0(VALU_DEP_2) | instskip(NEXT) | instid1(VALU_DEP_2)
	v_mul_lo_u32 v6, s2, v4
	v_mul_hi_u32 v9, s2, v3
	v_mul_lo_u32 v10, s26, v3
	s_delay_alu instid0(VALU_DEP_2) | instskip(SKIP_1) | instid1(VALU_DEP_2)
	v_add_nc_u32_e32 v6, v9, v6
	v_mul_lo_u32 v9, s2, v3
	v_add_nc_u32_e32 v6, v6, v10
	s_delay_alu instid0(VALU_DEP_2) | instskip(NEXT) | instid1(VALU_DEP_2)
	v_mul_hi_u32 v10, v3, v9
	v_mul_lo_u32 v11, v3, v6
	v_mul_hi_u32 v12, v3, v6
	v_mul_hi_u32 v13, v4, v9
	v_mul_lo_u32 v9, v4, v9
	v_mul_hi_u32 v14, v4, v6
	v_mul_lo_u32 v6, v4, v6
	v_add_co_u32 v10, vcc_lo, v10, v11
	v_add_co_ci_u32_e32 v11, vcc_lo, 0, v12, vcc_lo
	s_delay_alu instid0(VALU_DEP_2) | instskip(NEXT) | instid1(VALU_DEP_2)
	v_add_co_u32 v9, vcc_lo, v10, v9
	v_add_co_ci_u32_e32 v9, vcc_lo, v11, v13, vcc_lo
	v_add_co_ci_u32_e32 v10, vcc_lo, 0, v14, vcc_lo
	s_delay_alu instid0(VALU_DEP_2) | instskip(NEXT) | instid1(VALU_DEP_2)
	v_add_co_u32 v6, vcc_lo, v9, v6
	v_add_co_ci_u32_e32 v9, vcc_lo, 0, v10, vcc_lo
	s_delay_alu instid0(VALU_DEP_2) | instskip(NEXT) | instid1(VALU_DEP_2)
	v_add_co_u32 v3, vcc_lo, v3, v6
	v_add_co_ci_u32_e32 v4, vcc_lo, v4, v9, vcc_lo
	s_delay_alu instid0(VALU_DEP_2) | instskip(SKIP_1) | instid1(VALU_DEP_3)
	v_mul_hi_u32 v6, s2, v3
	v_mul_lo_u32 v10, s26, v3
	v_mul_lo_u32 v9, s2, v4
	s_delay_alu instid0(VALU_DEP_1) | instskip(SKIP_1) | instid1(VALU_DEP_2)
	v_add_nc_u32_e32 v6, v6, v9
	v_mul_lo_u32 v9, s2, v3
	v_add_nc_u32_e32 v6, v6, v10
	s_delay_alu instid0(VALU_DEP_2) | instskip(NEXT) | instid1(VALU_DEP_2)
	v_mul_hi_u32 v10, v3, v9
	v_mul_lo_u32 v11, v3, v6
	v_mul_hi_u32 v12, v3, v6
	v_mul_hi_u32 v13, v4, v9
	v_mul_lo_u32 v9, v4, v9
	v_mul_hi_u32 v14, v4, v6
	v_mul_lo_u32 v6, v4, v6
	v_add_co_u32 v10, vcc_lo, v10, v11
	v_add_co_ci_u32_e32 v11, vcc_lo, 0, v12, vcc_lo
	s_delay_alu instid0(VALU_DEP_2) | instskip(NEXT) | instid1(VALU_DEP_2)
	v_add_co_u32 v9, vcc_lo, v10, v9
	v_add_co_ci_u32_e32 v9, vcc_lo, v11, v13, vcc_lo
	v_add_co_ci_u32_e32 v10, vcc_lo, 0, v14, vcc_lo
	s_delay_alu instid0(VALU_DEP_2) | instskip(NEXT) | instid1(VALU_DEP_2)
	v_add_co_u32 v6, vcc_lo, v9, v6
	v_add_co_ci_u32_e32 v9, vcc_lo, 0, v10, vcc_lo
	s_delay_alu instid0(VALU_DEP_2) | instskip(NEXT) | instid1(VALU_DEP_2)
	v_add_co_u32 v6, vcc_lo, v3, v6
	v_add_co_ci_u32_e32 v13, vcc_lo, v4, v9, vcc_lo
	s_delay_alu instid0(VALU_DEP_2) | instskip(SKIP_1) | instid1(VALU_DEP_3)
	v_mul_hi_u32 v14, v7, v6
	v_mad_u64_u32 v[9:10], null, v8, v6, 0
	v_mad_u64_u32 v[3:4], null, v7, v13, 0
	;; [unrolled: 1-line block ×3, first 2 shown]
	s_delay_alu instid0(VALU_DEP_2) | instskip(NEXT) | instid1(VALU_DEP_3)
	v_add_co_u32 v3, vcc_lo, v14, v3
	v_add_co_ci_u32_e32 v4, vcc_lo, 0, v4, vcc_lo
	s_delay_alu instid0(VALU_DEP_2) | instskip(NEXT) | instid1(VALU_DEP_2)
	v_add_co_u32 v3, vcc_lo, v3, v9
	v_add_co_ci_u32_e32 v3, vcc_lo, v4, v10, vcc_lo
	v_add_co_ci_u32_e32 v4, vcc_lo, 0, v12, vcc_lo
	s_delay_alu instid0(VALU_DEP_2) | instskip(NEXT) | instid1(VALU_DEP_2)
	v_add_co_u32 v6, vcc_lo, v3, v11
	v_add_co_ci_u32_e32 v9, vcc_lo, 0, v4, vcc_lo
	s_delay_alu instid0(VALU_DEP_2) | instskip(SKIP_1) | instid1(VALU_DEP_3)
	v_mul_lo_u32 v10, s25, v6
	v_mad_u64_u32 v[3:4], null, s24, v6, 0
	v_mul_lo_u32 v11, s24, v9
	s_delay_alu instid0(VALU_DEP_2) | instskip(NEXT) | instid1(VALU_DEP_2)
	v_sub_co_u32 v3, vcc_lo, v7, v3
	v_add3_u32 v4, v4, v11, v10
	s_delay_alu instid0(VALU_DEP_1) | instskip(NEXT) | instid1(VALU_DEP_1)
	v_sub_nc_u32_e32 v10, v8, v4
	v_subrev_co_ci_u32_e64 v10, s2, s25, v10, vcc_lo
	v_add_co_u32 v11, s2, v6, 2
	s_delay_alu instid0(VALU_DEP_1) | instskip(SKIP_3) | instid1(VALU_DEP_3)
	v_add_co_ci_u32_e64 v12, s2, 0, v9, s2
	v_sub_co_u32 v13, s2, v3, s24
	v_sub_co_ci_u32_e32 v4, vcc_lo, v8, v4, vcc_lo
	v_subrev_co_ci_u32_e64 v10, s2, 0, v10, s2
	v_cmp_le_u32_e32 vcc_lo, s24, v13
	s_delay_alu instid0(VALU_DEP_3) | instskip(SKIP_1) | instid1(VALU_DEP_4)
	v_cmp_eq_u32_e64 s2, s25, v4
	v_cndmask_b32_e64 v13, 0, -1, vcc_lo
	v_cmp_le_u32_e32 vcc_lo, s25, v10
	v_cndmask_b32_e64 v14, 0, -1, vcc_lo
	v_cmp_le_u32_e32 vcc_lo, s24, v3
	;; [unrolled: 2-line block ×3, first 2 shown]
	v_cndmask_b32_e64 v15, 0, -1, vcc_lo
	v_cmp_eq_u32_e32 vcc_lo, s25, v10
	s_delay_alu instid0(VALU_DEP_2) | instskip(SKIP_3) | instid1(VALU_DEP_3)
	v_cndmask_b32_e64 v3, v15, v3, s2
	v_cndmask_b32_e32 v10, v14, v13, vcc_lo
	v_add_co_u32 v13, vcc_lo, v6, 1
	v_add_co_ci_u32_e32 v14, vcc_lo, 0, v9, vcc_lo
	v_cmp_ne_u32_e32 vcc_lo, 0, v10
	s_delay_alu instid0(VALU_DEP_2) | instskip(NEXT) | instid1(VALU_DEP_4)
	v_cndmask_b32_e32 v4, v14, v12, vcc_lo
	v_cndmask_b32_e32 v10, v13, v11, vcc_lo
	v_cmp_ne_u32_e32 vcc_lo, 0, v3
	s_delay_alu instid0(VALU_DEP_2)
	v_dual_cndmask_b32 v4, v9, v4 :: v_dual_cndmask_b32 v3, v6, v10
.LBB0_4:                                ;   in Loop: Header=BB0_2 Depth=1
	s_and_not1_saveexec_b32 s2, s3
	s_cbranch_execz .LBB0_6
; %bb.5:                                ;   in Loop: Header=BB0_2 Depth=1
	v_cvt_f32_u32_e32 v3, s24
	s_sub_i32 s3, 0, s24
	s_delay_alu instid0(VALU_DEP_1) | instskip(SKIP_2) | instid1(VALU_DEP_1)
	v_rcp_iflag_f32_e32 v3, v3
	s_waitcnt_depctr 0xfff
	v_mul_f32_e32 v3, 0x4f7ffffe, v3
	v_cvt_u32_f32_e32 v3, v3
	s_delay_alu instid0(VALU_DEP_1) | instskip(NEXT) | instid1(VALU_DEP_1)
	v_mul_lo_u32 v4, s3, v3
	v_mul_hi_u32 v4, v3, v4
	s_delay_alu instid0(VALU_DEP_1) | instskip(NEXT) | instid1(VALU_DEP_1)
	v_add_nc_u32_e32 v3, v3, v4
	v_mul_hi_u32 v3, v7, v3
	s_delay_alu instid0(VALU_DEP_1) | instskip(SKIP_1) | instid1(VALU_DEP_2)
	v_mul_lo_u32 v4, v3, s24
	v_add_nc_u32_e32 v6, 1, v3
	v_sub_nc_u32_e32 v4, v7, v4
	s_delay_alu instid0(VALU_DEP_1) | instskip(SKIP_1) | instid1(VALU_DEP_2)
	v_subrev_nc_u32_e32 v9, s24, v4
	v_cmp_le_u32_e32 vcc_lo, s24, v4
	v_dual_cndmask_b32 v4, v4, v9 :: v_dual_cndmask_b32 v3, v3, v6
	s_delay_alu instid0(VALU_DEP_1) | instskip(SKIP_1) | instid1(VALU_DEP_3)
	v_cmp_le_u32_e32 vcc_lo, s24, v4
	v_mov_b32_e32 v4, v5
	v_add_nc_u32_e32 v6, 1, v3
	s_delay_alu instid0(VALU_DEP_1)
	v_cndmask_b32_e32 v3, v3, v6, vcc_lo
.LBB0_6:                                ;   in Loop: Header=BB0_2 Depth=1
	s_or_b32 exec_lo, exec_lo, s2
	s_delay_alu instid0(VALU_DEP_1) | instskip(NEXT) | instid1(VALU_DEP_2)
	v_mul_lo_u32 v6, v4, s24
	v_mul_lo_u32 v11, v3, s25
	s_load_b64 s[2:3], s[14:15], 0x0
	v_mad_u64_u32 v[9:10], null, v3, s24, 0
	s_load_b64 s[24:25], s[12:13], 0x0
	s_add_u32 s22, s22, 1
	s_addc_u32 s23, s23, 0
	s_add_u32 s12, s12, 8
	s_addc_u32 s13, s13, 0
	s_add_u32 s14, s14, 8
	s_delay_alu instid0(VALU_DEP_1) | instskip(SKIP_3) | instid1(VALU_DEP_2)
	v_add3_u32 v6, v10, v11, v6
	v_sub_co_u32 v10, vcc_lo, v7, v9
	s_addc_u32 s15, s15, 0
	s_add_u32 s20, s20, 8
	v_sub_co_ci_u32_e32 v8, vcc_lo, v8, v6, vcc_lo
	s_addc_u32 s21, s21, 0
	s_waitcnt lgkmcnt(0)
	s_delay_alu instid0(VALU_DEP_1)
	v_mul_lo_u32 v11, s2, v8
	v_mul_lo_u32 v12, s3, v10
	v_mad_u64_u32 v[6:7], null, s2, v10, v[71:72]
	v_mul_lo_u32 v13, s24, v8
	v_mul_lo_u32 v14, s25, v10
	v_mad_u64_u32 v[8:9], null, s24, v10, v[1:2]
	v_cmp_ge_u64_e64 s2, s[22:23], s[10:11]
	v_add3_u32 v72, v12, v7, v11
	v_mov_b32_e32 v71, v6
	s_delay_alu instid0(VALU_DEP_4)
	v_add3_u32 v2, v14, v9, v13
	v_mov_b32_e32 v1, v8
	s_and_b32 vcc_lo, exec_lo, s2
	s_cbranch_vccnz .LBB0_9
; %bb.7:                                ;   in Loop: Header=BB0_2 Depth=1
	v_dual_mov_b32 v8, v4 :: v_dual_mov_b32 v7, v3
	s_branch .LBB0_2
.LBB0_8:
	v_dual_mov_b32 v1, v71 :: v_dual_mov_b32 v2, v72
	v_dual_mov_b32 v3, v7 :: v_dual_mov_b32 v4, v8
.LBB0_9:
	s_load_b64 s[0:1], s[0:1], 0x28
	v_mul_hi_u32 v5, 0x4a7904b, v0
	s_lshl_b64 s[10:11], s[10:11], 3
                                        ; implicit-def: $sgpr12
                                        ; implicit-def: $vgpr77
	s_delay_alu instid0(SALU_CYCLE_1) | instskip(SKIP_4) | instid1(VALU_DEP_1)
	s_add_u32 s2, s18, s10
	s_addc_u32 s3, s19, s11
	s_waitcnt lgkmcnt(0)
	v_cmp_gt_u64_e32 vcc_lo, s[0:1], v[3:4]
	v_cmp_le_u64_e64 s0, s[0:1], v[3:4]
	s_and_saveexec_b32 s1, s0
	s_delay_alu instid0(SALU_CYCLE_1)
	s_xor_b32 s0, exec_lo, s1
; %bb.10:
	v_mul_u32_u24_e32 v5, 55, v5
	s_mov_b32 s12, 0
                                        ; implicit-def: $vgpr71_vgpr72
	s_delay_alu instid0(VALU_DEP_1)
	v_sub_nc_u32_e32 v77, v0, v5
                                        ; implicit-def: $vgpr5
                                        ; implicit-def: $vgpr0
; %bb.11:
	s_or_saveexec_b32 s1, s0
	s_load_b64 s[2:3], s[2:3], 0x0
	v_dual_mov_b32 v10, s12 :: v_dual_mov_b32 v9, s12
                                        ; implicit-def: $vgpr58
                                        ; implicit-def: $vgpr70
                                        ; implicit-def: $vgpr64
                                        ; implicit-def: $vgpr60
                                        ; implicit-def: $vgpr54
                                        ; implicit-def: $vgpr50
                                        ; implicit-def: $vgpr38
                                        ; implicit-def: $vgpr46
                                        ; implicit-def: $vgpr42
                                        ; implicit-def: $vgpr36
                                        ; implicit-def: $vgpr32
                                        ; implicit-def: $vgpr28
                                        ; implicit-def: $vgpr26
                                        ; implicit-def: $vgpr24
                                        ; implicit-def: $vgpr16
                                        ; implicit-def: $vgpr12
                                        ; implicit-def: $vgpr6
                                        ; implicit-def: $vgpr20
                                        ; implicit-def: $vgpr22
                                        ; implicit-def: $vgpr18
                                        ; implicit-def: $vgpr14
                                        ; implicit-def: $vgpr8
                                        ; implicit-def: $vgpr48
                                        ; implicit-def: $vgpr44
                                        ; implicit-def: $vgpr40
                                        ; implicit-def: $vgpr34
                                        ; implicit-def: $vgpr30
                                        ; implicit-def: $vgpr66
                                        ; implicit-def: $vgpr68
                                        ; implicit-def: $vgpr62
                                        ; implicit-def: $vgpr56
                                        ; implicit-def: $vgpr52
	s_xor_b32 exec_lo, exec_lo, s1
	s_cbranch_execz .LBB0_15
; %bb.12:
	s_add_u32 s10, s16, s10
	s_addc_u32 s11, s17, s11
                                        ; implicit-def: $vgpr13
                                        ; implicit-def: $vgpr17
                                        ; implicit-def: $vgpr21
                                        ; implicit-def: $vgpr19
                                        ; implicit-def: $vgpr11
                                        ; implicit-def: $vgpr15
                                        ; implicit-def: $vgpr23
                                        ; implicit-def: $vgpr25
	v_mov_b32_e32 v10, 0
	s_load_b64 s[10:11], s[10:11], 0x0
	s_waitcnt lgkmcnt(0)
	v_mul_lo_u32 v8, s11, v3
	v_mul_lo_u32 v9, s10, v4
	v_mad_u64_u32 v[6:7], null, s10, v3, 0
	s_delay_alu instid0(VALU_DEP_1) | instskip(SKIP_1) | instid1(VALU_DEP_2)
	v_add3_u32 v7, v7, v9, v8
	v_mul_u32_u24_e32 v9, 55, v5
	v_lshlrev_b64 v[5:6], 3, v[6:7]
	v_lshlrev_b64 v[7:8], 3, v[71:72]
	s_delay_alu instid0(VALU_DEP_3) | instskip(NEXT) | instid1(VALU_DEP_3)
	v_sub_nc_u32_e32 v77, v0, v9
	v_add_co_u32 v0, s0, s4, v5
	s_delay_alu instid0(VALU_DEP_1) | instskip(NEXT) | instid1(VALU_DEP_3)
	v_add_co_ci_u32_e64 v5, s0, s5, v6, s0
	v_lshlrev_b32_e32 v9, 3, v77
	s_delay_alu instid0(VALU_DEP_3) | instskip(NEXT) | instid1(VALU_DEP_1)
	v_add_co_u32 v0, s0, v0, v7
	v_add_co_ci_u32_e64 v6, s0, v5, v8, s0
	s_mov_b32 s4, exec_lo
	s_delay_alu instid0(VALU_DEP_2) | instskip(NEXT) | instid1(VALU_DEP_1)
	v_add_co_u32 v71, s0, v0, v9
	v_add_co_ci_u32_e64 v72, s0, 0, v6, s0
	v_mov_b32_e32 v9, 0
	s_delay_alu instid0(VALU_DEP_3) | instskip(NEXT) | instid1(VALU_DEP_1)
	v_add_co_u32 v73, s0, 0x1000, v71
	v_add_co_ci_u32_e64 v74, s0, 0, v72, s0
	v_add_co_u32 v75, s0, 0x2000, v71
	s_clause 0x2
	global_load_b64 v[57:58], v[71:72], off
	global_load_b64 v[63:64], v[71:72], off offset:2000
	global_load_b64 v[53:54], v[71:72], off offset:4000
	v_add_co_ci_u32_e64 v76, s0, 0, v72, s0
	s_clause 0x12
	global_load_b64 v[45:46], v[71:72], off offset:1440
	global_load_b64 v[69:70], v[71:72], off offset:1000
	;; [unrolled: 1-line block ×19, first 2 shown]
                                        ; implicit-def: $vgpr7
                                        ; implicit-def: $vgpr5
	v_cmpx_gt_u32_e32 15, v77
; %bb.13:
	v_or_b32_e32 v8, 0x550, v77
	s_delay_alu instid0(VALU_DEP_1)
	v_lshlrev_b64 v[7:8], 3, v[8:9]
	s_clause 0x3
	global_load_b64 v[9:10], v[71:72], off offset:880
	global_load_b64 v[25:26], v[71:72], off offset:1880
	;; [unrolled: 1-line block ×4, first 2 shown]
	v_add_co_u32 v19, s0, v0, v7
	s_delay_alu instid0(VALU_DEP_1)
	v_add_co_ci_u32_e64 v20, s0, v6, v8, s0
	s_clause 0x6
	global_load_b64 v[11:12], v[73:74], off offset:784
	global_load_b64 v[5:6], v[73:74], off offset:1784
	;; [unrolled: 1-line block ×6, first 2 shown]
	global_load_b64 v[19:20], v[19:20], off
; %bb.14:
	s_or_b32 exec_lo, exec_lo, s4
.LBB0_15:
	s_delay_alu instid0(SALU_CYCLE_1)
	s_or_b32 exec_lo, exec_lo, s1
	s_waitcnt vmcnt(3)
	v_dual_add_f32 v0, v57, v69 :: v_dual_add_f32 v73, v67, v63
	s_waitcnt vmcnt(1)
	v_dual_add_f32 v71, v65, v69 :: v_dual_sub_f32 v72, v70, v66
	v_sub_f32_e32 v74, v64, v68
	s_delay_alu instid0(VALU_DEP_3) | instskip(NEXT) | instid1(VALU_DEP_3)
	v_dual_add_f32 v0, v0, v63 :: v_dual_mul_f32 v81, 0xbf27a4f4, v73
	v_mul_f32_e32 v75, 0x3f575c64, v71
	v_cmp_gt_u32_e64 s0, 15, v77
	v_mul_f32_e32 v82, 0xbf75a155, v73
	s_delay_alu instid0(VALU_DEP_4) | instskip(SKIP_3) | instid1(VALU_DEP_4)
	v_add_f32_e32 v0, v0, v59
	v_fmamk_f32 v88, v74, 0x3f4178ce, v81
	v_fmamk_f32 v83, v72, 0x3f0a6770, v75
	v_fmac_f32_e32 v75, 0xbf0a6770, v72
	v_dual_mul_f32 v79, 0xbf27a4f4, v71 :: v_dual_add_f32 v0, v0, v53
	v_mul_f32_e32 v78, 0xbe11bafb, v71
	v_fmac_f32_e32 v81, 0xbf4178ce, v74
	s_delay_alu instid0(VALU_DEP_3) | instskip(NEXT) | instid1(VALU_DEP_4)
	v_dual_add_f32 v75, v75, v57 :: v_dual_fmamk_f32 v86, v72, 0x3f4178ce, v79
	v_dual_add_f32 v0, v0, v49 :: v_dual_fmac_f32 v79, 0xbf4178ce, v72
	s_delay_alu instid0(VALU_DEP_1) | instskip(NEXT) | instid1(VALU_DEP_2)
	v_dual_sub_f32 v93, v42, v44 :: v_dual_add_f32 v0, v0, v51
	v_add_f32_e32 v79, v79, v57
	s_delay_alu instid0(VALU_DEP_2) | instskip(SKIP_2) | instid1(VALU_DEP_3)
	v_add_f32_e32 v0, v55, v0
	v_dual_mul_f32 v76, 0x3ed4b147, v71 :: v_dual_add_f32 v83, v83, v57
	v_fmamk_f32 v85, v72, 0x3f7d64f0, v78
	v_dual_mul_f32 v71, 0xbf75a155, v71 :: v_dual_add_f32 v0, v61, v0
	s_delay_alu instid0(VALU_DEP_3)
	v_fmamk_f32 v84, v72, 0x3f68dda4, v76
	v_fmac_f32_e32 v76, 0xbf68dda4, v72
	v_mul_f32_e32 v80, 0x3ed4b147, v73
	v_add_f32_e32 v85, v85, v57
	v_fmamk_f32 v87, v72, 0x3e903f40, v71
	v_add_f32_e32 v84, v84, v57
	v_add_f32_e32 v76, v76, v57
	v_fmac_f32_e32 v78, 0xbf7d64f0, v72
	v_fmac_f32_e32 v71, 0xbe903f40, v72
	v_dual_add_f32 v87, v87, v57 :: v_dual_fmamk_f32 v72, v74, 0x3f68dda4, v80
	v_add_f32_e32 v0, v67, v0
	v_add_f32_e32 v76, v76, v81
	v_mul_f32_e32 v81, 0xbe11bafb, v73
	v_add_f32_e32 v78, v78, v57
	v_add_f32_e32 v86, v86, v57
	;; [unrolled: 1-line block ×4, first 2 shown]
	v_fmamk_f32 v83, v74, 0xbf7d64f0, v81
	v_fmac_f32_e32 v81, 0x3f7d64f0, v74
	v_fmac_f32_e32 v80, 0xbf68dda4, v74
	v_dual_add_f32 v0, v65, v0 :: v_dual_mul_f32 v73, 0x3f575c64, v73
	s_delay_alu instid0(VALU_DEP_2) | instskip(SKIP_1) | instid1(VALU_DEP_1)
	v_dual_add_f32 v83, v86, v83 :: v_dual_add_f32 v72, v75, v80
	v_fmamk_f32 v75, v74, 0xbe903f40, v82
	v_add_f32_e32 v75, v85, v75
	v_sub_f32_e32 v85, v60, v62
	v_add_f32_e32 v80, v84, v88
	v_fmamk_f32 v84, v74, 0xbf0a6770, v73
	v_fmac_f32_e32 v82, 0x3e903f40, v74
	v_dual_fmac_f32 v73, 0x3f0a6770, v74 :: v_dual_add_f32 v74, v79, v81
	s_delay_alu instid0(VALU_DEP_2) | instskip(NEXT) | instid1(VALU_DEP_2)
	v_dual_add_f32 v79, v87, v84 :: v_dual_add_f32 v78, v78, v82
	v_add_f32_e32 v57, v57, v73
	v_add_f32_e32 v82, v61, v59
	s_delay_alu instid0(VALU_DEP_1) | instskip(NEXT) | instid1(VALU_DEP_1)
	v_mul_f32_e32 v88, 0xbe11bafb, v82
	v_fmamk_f32 v81, v85, 0x3f7d64f0, v88
	s_delay_alu instid0(VALU_DEP_1) | instskip(SKIP_2) | instid1(VALU_DEP_2)
	v_add_f32_e32 v71, v71, v81
	v_mul_f32_e32 v73, 0x3ed4b147, v82
	v_mul_f32_e32 v84, 0xbf75a155, v82
	v_fmamk_f32 v86, v85, 0xbf68dda4, v73
	v_fmac_f32_e32 v73, 0x3f68dda4, v85
	s_delay_alu instid0(VALU_DEP_2) | instskip(NEXT) | instid1(VALU_DEP_2)
	v_add_f32_e32 v75, v75, v86
	v_add_f32_e32 v73, v78, v73
	v_fmac_f32_e32 v88, 0xbf7d64f0, v85
	v_dual_fmamk_f32 v81, v85, 0xbe903f40, v84 :: v_dual_sub_f32 v86, v54, v56
	v_add_f32_e32 v78, v55, v53
	s_delay_alu instid0(VALU_DEP_3) | instskip(NEXT) | instid1(VALU_DEP_3)
	v_add_f32_e32 v72, v72, v88
	v_dual_add_f32 v80, v80, v81 :: v_dual_mul_f32 v81, 0x3f575c64, v82
	v_mul_f32_e32 v82, 0xbf27a4f4, v82
	s_delay_alu instid0(VALU_DEP_1) | instskip(NEXT) | instid1(VALU_DEP_1)
	v_fmamk_f32 v88, v85, 0x3f4178ce, v82
	v_dual_fmac_f32 v82, 0xbf4178ce, v85 :: v_dual_add_f32 v79, v79, v88
	s_delay_alu instid0(VALU_DEP_1) | instskip(NEXT) | instid1(VALU_DEP_1)
	v_dual_fmac_f32 v84, 0x3e903f40, v85 :: v_dual_add_f32 v57, v57, v82
	v_add_f32_e32 v76, v76, v84
	v_fmamk_f32 v84, v85, 0x3f0a6770, v81
	v_fmac_f32_e32 v81, 0xbf0a6770, v85
	v_mul_f32_e32 v87, 0xbf27a4f4, v78
	s_delay_alu instid0(VALU_DEP_2) | instskip(NEXT) | instid1(VALU_DEP_2)
	v_dual_add_f32 v83, v83, v84 :: v_dual_add_f32 v74, v74, v81
	v_fmamk_f32 v81, v86, 0x3f4178ce, v87
	v_fmac_f32_e32 v87, 0xbf4178ce, v86
	v_mul_f32_e32 v85, 0xbf75a155, v78
	s_delay_alu instid0(VALU_DEP_3) | instskip(NEXT) | instid1(VALU_DEP_3)
	v_add_f32_e32 v71, v71, v81
	v_dual_mul_f32 v81, 0x3f575c64, v78 :: v_dual_add_f32 v72, v72, v87
	s_delay_alu instid0(VALU_DEP_1) | instskip(SKIP_1) | instid1(VALU_DEP_1)
	v_fmamk_f32 v87, v86, 0x3f0a6770, v81
	v_fmac_f32_e32 v81, 0xbf0a6770, v86
	v_dual_mul_f32 v84, 0xbe11bafb, v78 :: v_dual_add_f32 v73, v73, v81
	s_delay_alu instid0(VALU_DEP_1) | instskip(NEXT) | instid1(VALU_DEP_1)
	v_fmamk_f32 v82, v86, 0xbf7d64f0, v84
	v_add_f32_e32 v80, v80, v82
	v_dual_fmamk_f32 v82, v86, 0x3e903f40, v85 :: v_dual_add_f32 v75, v75, v87
	s_delay_alu instid0(VALU_DEP_1) | instskip(SKIP_2) | instid1(VALU_DEP_2)
	v_add_f32_e32 v81, v83, v82
	v_dual_add_f32 v83, v37, v45 :: v_dual_fmac_f32 v84, 0x3f7d64f0, v86
	v_add_f32_e32 v82, v51, v49
	v_dual_add_f32 v83, v83, v41 :: v_dual_add_f32 v76, v76, v84
	v_fmac_f32_e32 v85, 0xbe903f40, v86
	v_mul_f32_e32 v78, 0x3ed4b147, v78
	s_delay_alu instid0(VALU_DEP_4) | instskip(NEXT) | instid1(VALU_DEP_3)
	v_mul_f32_e32 v87, 0xbf75a155, v82
	v_dual_add_f32 v83, v83, v35 :: v_dual_add_f32 v74, v74, v85
	v_sub_f32_e32 v85, v50, v52
	s_delay_alu instid0(VALU_DEP_4) | instskip(SKIP_1) | instid1(VALU_DEP_3)
	v_fmamk_f32 v84, v86, 0xbf68dda4, v78
	v_fmac_f32_e32 v78, 0x3f68dda4, v86
	v_fmamk_f32 v86, v85, 0x3e903f40, v87
	s_delay_alu instid0(VALU_DEP_1) | instskip(SKIP_1) | instid1(VALU_DEP_4)
	v_dual_fmac_f32 v87, 0xbe903f40, v85 :: v_dual_add_f32 v86, v71, v86
	v_add_f32_e32 v71, v83, v31
	v_add_f32_e32 v57, v57, v78
	v_dual_add_f32 v79, v79, v84 :: v_dual_mul_f32 v84, 0x3f575c64, v82
	s_delay_alu instid0(VALU_DEP_4) | instskip(NEXT) | instid1(VALU_DEP_4)
	v_dual_mul_f32 v83, 0xbf27a4f4, v82 :: v_dual_add_f32 v72, v72, v87
	v_add_f32_e32 v71, v71, v27
	s_delay_alu instid0(VALU_DEP_2) | instskip(NEXT) | instid1(VALU_DEP_4)
	v_fmamk_f32 v87, v85, 0x3f4178ce, v83
	v_fmamk_f32 v78, v85, 0xbf0a6770, v84
	v_fmac_f32_e32 v84, 0x3f0a6770, v85
	s_delay_alu instid0(VALU_DEP_4) | instskip(NEXT) | instid1(VALU_DEP_2)
	v_add_f32_e32 v71, v71, v29
	v_dual_add_f32 v75, v75, v87 :: v_dual_add_f32 v76, v76, v84
	s_delay_alu instid0(VALU_DEP_4) | instskip(NEXT) | instid1(VALU_DEP_3)
	v_dual_add_f32 v78, v80, v78 :: v_dual_fmac_f32 v83, 0xbf4178ce, v85
	v_dual_mul_f32 v80, 0x3ed4b147, v82 :: v_dual_add_f32 v71, v33, v71
	s_delay_alu instid0(VALU_DEP_2) | instskip(SKIP_1) | instid1(VALU_DEP_2)
	v_add_f32_e32 v73, v73, v83
	s_waitcnt vmcnt(0)
	v_dual_fmamk_f32 v84, v85, 0xbf68dda4, v80 :: v_dual_add_f32 v83, v47, v45
	v_mul_f32_e32 v82, 0xbe11bafb, v82
	v_dual_fmac_f32 v80, 0x3f68dda4, v85 :: v_dual_add_f32 v71, v39, v71
	s_delay_alu instid0(VALU_DEP_3) | instskip(NEXT) | instid1(VALU_DEP_4)
	v_add_f32_e32 v81, v81, v84
	v_mul_f32_e32 v87, 0x3f575c64, v83
	s_delay_alu instid0(VALU_DEP_4) | instskip(NEXT) | instid1(VALU_DEP_4)
	v_fmamk_f32 v84, v85, 0x3f7d64f0, v82
	v_dual_fmac_f32 v82, 0xbf7d64f0, v85 :: v_dual_add_f32 v71, v43, v71
	v_sub_f32_e32 v85, v46, v48
	v_add_f32_e32 v74, v74, v80
	s_delay_alu instid0(VALU_DEP_4) | instskip(NEXT) | instid1(VALU_DEP_4)
	v_add_f32_e32 v79, v79, v84
	v_dual_add_f32 v57, v57, v82 :: v_dual_mul_f32 v82, 0x3ed4b147, v83
	s_delay_alu instid0(VALU_DEP_4) | instskip(NEXT) | instid1(VALU_DEP_1)
	v_fmamk_f32 v80, v85, 0x3f0a6770, v87
	v_add_f32_e32 v80, v80, v37
	v_dual_add_f32 v84, v47, v71 :: v_dual_fmac_f32 v87, 0xbf0a6770, v85
	s_delay_alu instid0(VALU_DEP_4) | instskip(SKIP_1) | instid1(VALU_DEP_3)
	v_fmamk_f32 v88, v85, 0x3f68dda4, v82
	v_fmac_f32_e32 v82, 0xbf68dda4, v85
	v_add_f32_e32 v87, v87, v37
	s_delay_alu instid0(VALU_DEP_3) | instskip(NEXT) | instid1(VALU_DEP_1)
	v_dual_mul_f32 v71, 0xbe11bafb, v83 :: v_dual_add_f32 v88, v88, v37
	v_dual_add_f32 v82, v82, v37 :: v_dual_fmamk_f32 v89, v85, 0x3f7d64f0, v71
	v_mul_f32_e32 v90, 0xbf27a4f4, v83
	v_fmac_f32_e32 v71, 0xbf7d64f0, v85
	s_delay_alu instid0(VALU_DEP_3) | instskip(NEXT) | instid1(VALU_DEP_3)
	v_add_f32_e32 v89, v89, v37
	v_dual_add_f32 v91, v43, v41 :: v_dual_fmamk_f32 v92, v85, 0x3f4178ce, v90
	v_mul_f32_e32 v83, 0xbf75a155, v83
	v_fmac_f32_e32 v90, 0xbf4178ce, v85
	s_delay_alu instid0(VALU_DEP_2) | instskip(NEXT) | instid1(VALU_DEP_4)
	v_dual_add_f32 v92, v92, v37 :: v_dual_fmamk_f32 v95, v85, 0x3e903f40, v83
	v_mul_f32_e32 v94, 0x3ed4b147, v91
	v_fmac_f32_e32 v83, 0xbe903f40, v85
	s_delay_alu instid0(VALU_DEP_3) | instskip(NEXT) | instid1(VALU_DEP_3)
	v_dual_mul_f32 v96, 0xbf27a4f4, v91 :: v_dual_add_f32 v95, v95, v37
	v_fmamk_f32 v85, v93, 0x3f68dda4, v94
	s_delay_alu instid0(VALU_DEP_1) | instskip(SKIP_1) | instid1(VALU_DEP_1)
	v_dual_add_f32 v80, v80, v85 :: v_dual_fmamk_f32 v85, v93, 0x3f4178ce, v96
	v_fmac_f32_e32 v96, 0xbf4178ce, v93
	v_dual_add_f32 v82, v82, v96 :: v_dual_add_f32 v71, v71, v37
	v_fmac_f32_e32 v94, 0xbf68dda4, v93
	s_delay_alu instid0(VALU_DEP_1) | instskip(SKIP_2) | instid1(VALU_DEP_2)
	v_dual_sub_f32 v96, v36, v40 :: v_dual_add_f32 v87, v87, v94
	v_dual_mul_f32 v94, 0xbe11bafb, v91 :: v_dual_add_f32 v85, v88, v85
	v_add_f32_e32 v90, v90, v37
	v_fmamk_f32 v88, v93, 0xbf7d64f0, v94
	s_delay_alu instid0(VALU_DEP_1) | instskip(SKIP_2) | instid1(VALU_DEP_1)
	v_dual_add_f32 v88, v92, v88 :: v_dual_add_f32 v37, v83, v37
	v_mul_f32_e32 v83, 0xbf75a155, v91
	v_mul_f32_e32 v91, 0x3f575c64, v91
	v_fmamk_f32 v92, v93, 0xbf0a6770, v91
	s_delay_alu instid0(VALU_DEP_3) | instskip(NEXT) | instid1(VALU_DEP_2)
	v_fmamk_f32 v97, v93, 0xbe903f40, v83
	v_dual_fmac_f32 v83, 0x3e903f40, v93 :: v_dual_add_f32 v92, v95, v92
	s_delay_alu instid0(VALU_DEP_2) | instskip(NEXT) | instid1(VALU_DEP_2)
	v_add_f32_e32 v89, v89, v97
	v_add_f32_e32 v71, v71, v83
	v_add_f32_e32 v83, v39, v35
	v_fmac_f32_e32 v91, 0x3f0a6770, v93
	v_fmac_f32_e32 v94, 0x3f7d64f0, v93
	s_delay_alu instid0(VALU_DEP_3) | instskip(SKIP_1) | instid1(VALU_DEP_3)
	v_mul_f32_e32 v97, 0xbe11bafb, v83
	v_mul_f32_e32 v93, 0xbf75a155, v83
	v_dual_add_f32 v37, v37, v91 :: v_dual_add_f32 v90, v90, v94
	s_delay_alu instid0(VALU_DEP_3) | instskip(NEXT) | instid1(VALU_DEP_3)
	v_fmamk_f32 v94, v96, 0x3f7d64f0, v97
	v_fmamk_f32 v95, v96, 0xbe903f40, v93
	s_delay_alu instid0(VALU_DEP_2) | instskip(NEXT) | instid1(VALU_DEP_1)
	v_dual_fmac_f32 v93, 0x3e903f40, v96 :: v_dual_add_f32 v80, v80, v94
	v_dual_mul_f32 v91, 0x3ed4b147, v83 :: v_dual_add_f32 v82, v82, v93
	v_mul_f32_e32 v93, 0x3f575c64, v83
	s_delay_alu instid0(VALU_DEP_4) | instskip(SKIP_1) | instid1(VALU_DEP_4)
	v_add_f32_e32 v85, v85, v95
	v_mul_f32_e32 v83, 0xbf27a4f4, v83
	v_fmamk_f32 v94, v96, 0xbf68dda4, v91
	s_delay_alu instid0(VALU_DEP_1) | instskip(NEXT) | instid1(VALU_DEP_1)
	v_dual_add_f32 v89, v89, v94 :: v_dual_fmamk_f32 v94, v96, 0x3f0a6770, v93
	v_dual_fmac_f32 v93, 0xbf0a6770, v96 :: v_dual_add_f32 v88, v88, v94
	s_delay_alu instid0(VALU_DEP_1) | instskip(SKIP_1) | instid1(VALU_DEP_2)
	v_dual_fmac_f32 v97, 0xbf7d64f0, v96 :: v_dual_add_f32 v90, v90, v93
	v_fmac_f32_e32 v91, 0x3f68dda4, v96
	v_add_f32_e32 v87, v87, v97
	v_sub_f32_e32 v97, v32, v34
	s_delay_alu instid0(VALU_DEP_3) | instskip(SKIP_1) | instid1(VALU_DEP_1)
	v_add_f32_e32 v71, v71, v91
	v_add_f32_e32 v91, v33, v31
	v_mul_f32_e32 v98, 0xbf27a4f4, v91
	s_delay_alu instid0(VALU_DEP_1) | instskip(SKIP_2) | instid1(VALU_DEP_2)
	v_fmamk_f32 v93, v97, 0x3f4178ce, v98
	v_fmac_f32_e32 v98, 0xbf4178ce, v97
	v_mul_f32_e32 v94, 0xbe11bafb, v91
	v_dual_add_f32 v80, v80, v93 :: v_dual_add_f32 v87, v87, v98
	s_delay_alu instid0(VALU_DEP_2) | instskip(SKIP_1) | instid1(VALU_DEP_1)
	v_fmamk_f32 v93, v97, 0xbf7d64f0, v94
	v_fmac_f32_e32 v94, 0x3f7d64f0, v97
	v_dual_add_f32 v85, v85, v93 :: v_dual_add_f32 v82, v82, v94
	v_fmamk_f32 v95, v96, 0x3f4178ce, v83
	v_fmac_f32_e32 v83, 0xbf4178ce, v96
	v_mul_f32_e32 v96, 0xbf75a155, v91
	v_sub_f32_e32 v94, v28, v30
	s_delay_alu instid0(VALU_DEP_4) | instskip(NEXT) | instid1(VALU_DEP_4)
	v_add_f32_e32 v92, v92, v95
	v_add_f32_e32 v37, v37, v83
	s_delay_alu instid0(VALU_DEP_4) | instskip(SKIP_1) | instid1(VALU_DEP_2)
	v_fmamk_f32 v93, v97, 0x3e903f40, v96
	v_fmac_f32_e32 v96, 0xbe903f40, v97
	v_add_f32_e32 v88, v88, v93
	s_delay_alu instid0(VALU_DEP_2) | instskip(SKIP_1) | instid1(VALU_DEP_2)
	v_dual_add_f32 v90, v90, v96 :: v_dual_mul_f32 v83, 0x3f575c64, v91
	v_mul_f32_e32 v91, 0x3ed4b147, v91
	v_fmamk_f32 v95, v97, 0x3f0a6770, v83
	v_fmac_f32_e32 v83, 0xbf0a6770, v97
	s_delay_alu instid0(VALU_DEP_3) | instskip(SKIP_1) | instid1(VALU_DEP_4)
	v_fmamk_f32 v93, v97, 0xbf68dda4, v91
	v_fmac_f32_e32 v91, 0x3f68dda4, v97
	v_add_f32_e32 v89, v89, v95
	s_delay_alu instid0(VALU_DEP_4) | instskip(NEXT) | instid1(VALU_DEP_4)
	v_add_f32_e32 v71, v71, v83
	v_dual_add_f32 v83, v29, v27 :: v_dual_add_f32 v92, v92, v93
	s_delay_alu instid0(VALU_DEP_4) | instskip(NEXT) | instid1(VALU_DEP_2)
	v_add_f32_e32 v37, v37, v91
	v_mul_f32_e32 v95, 0xbf75a155, v83
	v_mul_f32_e32 v96, 0x3f575c64, v83
	;; [unrolled: 1-line block ×3, first 2 shown]
	s_delay_alu instid0(VALU_DEP_3) | instskip(NEXT) | instid1(VALU_DEP_3)
	v_fmamk_f32 v93, v94, 0x3e903f40, v95
	v_fmamk_f32 v91, v94, 0xbf0a6770, v96
	v_fmac_f32_e32 v96, 0x3f0a6770, v94
	s_delay_alu instid0(VALU_DEP_3) | instskip(NEXT) | instid1(VALU_DEP_3)
	v_dual_fmac_f32 v95, 0xbe903f40, v94 :: v_dual_add_f32 v80, v80, v93
	v_add_f32_e32 v85, v85, v91
	v_fmamk_f32 v91, v94, 0x3f4178ce, v97
	v_fmac_f32_e32 v97, 0xbf4178ce, v94
	v_mul_f32_e32 v93, 0x3ed4b147, v83
	v_dual_mul_f32 v83, 0xbe11bafb, v83 :: v_dual_add_f32 v82, v82, v96
	v_add_f32_e32 v87, v87, v95
	s_delay_alu instid0(VALU_DEP_3) | instskip(NEXT) | instid1(VALU_DEP_3)
	v_fmamk_f32 v95, v94, 0xbf68dda4, v93
	v_dual_fmamk_f32 v96, v94, 0x3f7d64f0, v83 :: v_dual_add_f32 v89, v89, v91
	v_add_f32_e32 v91, v71, v97
	v_mad_u32_u24 v71, v77, 44, 0
	v_fmac_f32_e32 v93, 0x3f68dda4, v94
	v_fmac_f32_e32 v83, 0xbf7d64f0, v94
	ds_store_2addr_b32 v71, v0, v86 offset1:1
	ds_store_2addr_b32 v71, v78, v75 offset0:2 offset1:3
	ds_store_2addr_b32 v71, v81, v79 offset0:4 offset1:5
	;; [unrolled: 1-line block ×4, first 2 shown]
	ds_store_b32 v71, v72 offset:40
	v_add_nc_u32_e32 v72, 0x974, v71
	v_add_nc_u32_e32 v73, 0x97c, v71
	;; [unrolled: 1-line block ×5, first 2 shown]
	v_add_f32_e32 v88, v88, v95
	v_add_f32_e32 v92, v92, v96
	v_dual_add_f32 v90, v90, v93 :: v_dual_add_f32 v37, v37, v83
	ds_store_2addr_b32 v73, v85, v89 offset1:1
	ds_store_2addr_b32 v74, v88, v92 offset1:1
	;; [unrolled: 1-line block ×5, first 2 shown]
	ds_store_b32 v71, v87 offset:2460
	s_and_saveexec_b32 s1, s0
	s_cbranch_execz .LBB0_17
; %bb.16:
	v_dual_sub_f32 v0, v26, v20 :: v_dual_add_f32 v37, v25, v19
	v_dual_add_f32 v57, v23, v21 :: v_dual_sub_f32 v78, v24, v22
	s_delay_alu instid0(VALU_DEP_2) | instskip(SKIP_2) | instid1(VALU_DEP_4)
	v_dual_add_f32 v79, v15, v17 :: v_dual_mul_f32 v80, 0xbe903f40, v0
	v_sub_f32_e32 v87, v6, v8
	v_dual_sub_f32 v81, v16, v18 :: v_dual_add_f32 v82, v11, v13
	v_mul_f32_e32 v84, 0x3f0a6770, v78
	v_dual_sub_f32 v83, v12, v14 :: v_dual_add_f32 v86, v5, v7
	s_delay_alu instid0(VALU_DEP_3) | instskip(SKIP_1) | instid1(VALU_DEP_4)
	v_mul_f32_e32 v88, 0xbf4178ce, v81
	v_mul_f32_e32 v96, 0xbf4178ce, v87
	v_fmamk_f32 v89, v57, 0x3f575c64, v84
	v_fma_f32 v84, 0x3f575c64, v57, -v84
	v_fmamk_f32 v85, v37, 0xbf75a155, v80
	v_fma_f32 v80, 0xbf75a155, v37, -v80
	v_mul_f32_e32 v91, 0xbf7d64f0, v87
	v_mul_f32_e32 v98, 0x3e903f40, v81
	;; [unrolled: 1-line block ×3, first 2 shown]
	s_delay_alu instid0(VALU_DEP_4) | instskip(NEXT) | instid1(VALU_DEP_1)
	v_dual_fmamk_f32 v97, v86, 0xbf27a4f4, v96 :: v_dual_add_f32 v80, v9, v80
	v_dual_mul_f32 v95, 0x3e903f40, v78 :: v_dual_add_f32 v80, v80, v84
	v_add_f32_e32 v85, v9, v85
	s_delay_alu instid0(VALU_DEP_1) | instskip(SKIP_1) | instid1(VALU_DEP_1)
	v_add_f32_e32 v85, v85, v89
	v_mul_f32_e32 v89, 0xbf4178ce, v0
	v_fmamk_f32 v84, v37, 0xbf27a4f4, v89
	v_fmamk_f32 v93, v82, 0x3ed4b147, v90
	v_fma_f32 v90, 0x3ed4b147, v82, -v90
	v_fma_f32 v89, 0xbf27a4f4, v37, -v89
	s_delay_alu instid0(VALU_DEP_4) | instskip(SKIP_2) | instid1(VALU_DEP_4)
	v_add_f32_e32 v84, v9, v84
	v_fmamk_f32 v92, v79, 0xbf27a4f4, v88
	v_fma_f32 v88, 0xbf27a4f4, v79, -v88
	v_add_f32_e32 v89, v9, v89
	s_delay_alu instid0(VALU_DEP_3) | instskip(NEXT) | instid1(VALU_DEP_1)
	v_dual_add_f32 v85, v85, v92 :: v_dual_fmamk_f32 v92, v86, 0xbe11bafb, v91
	v_dual_add_f32 v80, v80, v88 :: v_dual_add_f32 v85, v85, v93
	v_mul_f32_e32 v93, 0x3f7d64f0, v78
	s_delay_alu instid0(VALU_DEP_2)
	v_add_f32_e32 v80, v80, v90
	v_fma_f32 v90, 0xbe11bafb, v86, -v91
	v_mul_f32_e32 v91, 0xbe903f40, v83
	v_add_f32_e32 v85, v85, v92
	v_fmamk_f32 v88, v57, 0xbe11bafb, v93
	v_mul_f32_e32 v92, 0xbf0a6770, v81
	v_add_f32_e32 v80, v80, v90
	s_delay_alu instid0(VALU_DEP_3) | instskip(NEXT) | instid1(VALU_DEP_3)
	v_add_f32_e32 v84, v84, v88
	v_fmamk_f32 v88, v79, 0x3f575c64, v92
	v_fma_f32 v90, 0xbe11bafb, v57, -v93
	s_delay_alu instid0(VALU_DEP_2) | instskip(NEXT) | instid1(VALU_DEP_2)
	v_dual_mul_f32 v93, 0x3f68dda4, v87 :: v_dual_add_f32 v84, v84, v88
	v_dual_fmamk_f32 v88, v82, 0xbf75a155, v91 :: v_dual_add_f32 v89, v89, v90
	v_fma_f32 v90, 0x3f575c64, v79, -v92
	v_mul_f32_e32 v94, 0xbf7d64f0, v0
	s_delay_alu instid0(VALU_DEP_2) | instskip(NEXT) | instid1(VALU_DEP_2)
	v_dual_add_f32 v84, v84, v88 :: v_dual_add_f32 v89, v89, v90
	v_fmamk_f32 v92, v37, 0xbe11bafb, v94
	v_fma_f32 v90, 0xbf75a155, v82, -v91
	v_fmamk_f32 v88, v86, 0x3ed4b147, v93
	v_fmamk_f32 v91, v57, 0xbf75a155, v95
	s_delay_alu instid0(VALU_DEP_2)
	v_dual_add_f32 v89, v89, v90 :: v_dual_add_f32 v84, v84, v88
	v_add_f32_e32 v88, v9, v92
	v_fma_f32 v90, 0x3ed4b147, v86, -v93
	v_mul_f32_e32 v92, 0x3f68dda4, v81
	v_fma_f32 v93, 0xbe11bafb, v37, -v94
	v_mul_f32_e32 v94, 0xbf0a6770, v83
	s_delay_alu instid0(VALU_DEP_4) | instskip(NEXT) | instid1(VALU_DEP_3)
	v_dual_add_f32 v88, v88, v91 :: v_dual_add_f32 v89, v89, v90
	v_dual_fmamk_f32 v91, v79, 0x3ed4b147, v92 :: v_dual_add_f32 v90, v9, v93
	v_fma_f32 v93, 0xbf75a155, v57, -v95
	v_mul_f32_e32 v95, 0xbf68dda4, v0
	v_fma_f32 v92, 0x3ed4b147, v79, -v92
	s_delay_alu instid0(VALU_DEP_4) | instskip(SKIP_1) | instid1(VALU_DEP_2)
	v_dual_add_f32 v88, v88, v91 :: v_dual_fmamk_f32 v91, v82, 0x3f575c64, v94
	v_mul_f32_e32 v0, 0xbf0a6770, v0
	v_dual_mul_f32 v81, 0xbf7d64f0, v81 :: v_dual_add_f32 v88, v88, v91
	v_dual_fmamk_f32 v91, v37, 0x3ed4b147, v95 :: v_dual_add_f32 v90, v90, v93
	v_mul_f32_e32 v93, 0xbf4178ce, v78
	v_fma_f32 v96, 0xbf27a4f4, v86, -v96
	s_delay_alu instid0(VALU_DEP_3) | instskip(SKIP_1) | instid1(VALU_DEP_1)
	v_dual_add_f32 v91, v9, v91 :: v_dual_add_f32 v90, v90, v92
	v_fma_f32 v92, 0x3f575c64, v82, -v94
	v_add_f32_e32 v90, v90, v92
	v_fma_f32 v92, 0x3ed4b147, v37, -v95
	v_mul_f32_e32 v95, 0x3f7d64f0, v83
	s_delay_alu instid0(VALU_DEP_3) | instskip(SKIP_1) | instid1(VALU_DEP_4)
	v_dual_mul_f32 v83, 0xbf4178ce, v83 :: v_dual_add_f32 v90, v90, v96
	v_add_f32_e32 v96, v9, v25
	v_add_f32_e32 v92, v9, v92
	s_delay_alu instid0(VALU_DEP_2) | instskip(NEXT) | instid1(VALU_DEP_1)
	v_add_f32_e32 v96, v96, v23
	v_add_f32_e32 v96, v96, v15
	v_fmamk_f32 v94, v57, 0xbf27a4f4, v93
	v_fma_f32 v93, 0xbf27a4f4, v57, -v93
	s_delay_alu instid0(VALU_DEP_2) | instskip(SKIP_1) | instid1(VALU_DEP_3)
	v_add_f32_e32 v91, v91, v94
	v_fmamk_f32 v94, v79, 0xbf75a155, v98
	v_add_f32_e32 v92, v92, v93
	v_fma_f32 v93, 0xbf75a155, v79, -v98
	s_delay_alu instid0(VALU_DEP_3) | instskip(NEXT) | instid1(VALU_DEP_1)
	v_dual_add_f32 v91, v91, v94 :: v_dual_fmamk_f32 v94, v82, 0xbe11bafb, v95
	v_dual_add_f32 v91, v91, v94 :: v_dual_mul_f32 v94, 0x3f0a6770, v87
	v_add_f32_e32 v88, v88, v97
	s_delay_alu instid0(VALU_DEP_4) | instskip(SKIP_4) | instid1(VALU_DEP_4)
	v_add_f32_e32 v92, v92, v93
	v_fma_f32 v93, 0xbe11bafb, v82, -v95
	v_fmamk_f32 v97, v37, 0x3f575c64, v0
	v_fma_f32 v0, 0x3f575c64, v37, -v0
	v_add_f32_e32 v37, v96, v11
	v_add_f32_e32 v92, v92, v93
	s_delay_alu instid0(VALU_DEP_4) | instskip(NEXT) | instid1(VALU_DEP_4)
	v_add_f32_e32 v93, v9, v97
	v_add_f32_e32 v0, v9, v0
	s_delay_alu instid0(VALU_DEP_4) | instskip(NEXT) | instid1(VALU_DEP_1)
	v_dual_add_f32 v9, v37, v5 :: v_dual_mul_f32 v78, 0xbf68dda4, v78
	v_add_f32_e32 v9, v9, v7
	s_delay_alu instid0(VALU_DEP_2) | instskip(NEXT) | instid1(VALU_DEP_2)
	v_fma_f32 v37, 0x3ed4b147, v57, -v78
	v_add_f32_e32 v9, v13, v9
	s_delay_alu instid0(VALU_DEP_2) | instskip(SKIP_2) | instid1(VALU_DEP_4)
	v_add_f32_e32 v0, v0, v37
	v_fma_f32 v37, 0xbe11bafb, v79, -v81
	v_fmamk_f32 v95, v86, 0x3f575c64, v94
	v_add_f32_e32 v9, v17, v9
	s_delay_alu instid0(VALU_DEP_3) | instskip(SKIP_1) | instid1(VALU_DEP_3)
	v_add_f32_e32 v0, v0, v37
	v_fma_f32 v37, 0xbf27a4f4, v82, -v83
	v_add_f32_e32 v9, v21, v9
	v_fmamk_f32 v96, v57, 0x3ed4b147, v78
	v_fmamk_f32 v78, v79, 0xbe11bafb, v81
	v_mul_f32_e32 v79, 0xbe903f40, v87
	v_fma_f32 v81, 0x3f575c64, v86, -v94
	v_add_f32_e32 v9, v19, v9
	v_dual_add_f32 v57, v93, v96 :: v_dual_add_f32 v0, v0, v37
	s_delay_alu instid0(VALU_DEP_4) | instskip(NEXT) | instid1(VALU_DEP_2)
	v_fma_f32 v37, 0xbf75a155, v86, -v79
	v_dual_add_f32 v57, v57, v78 :: v_dual_fmamk_f32 v78, v82, 0xbf27a4f4, v83
	s_delay_alu instid0(VALU_DEP_2) | instskip(SKIP_2) | instid1(VALU_DEP_4)
	v_dual_add_f32 v0, v0, v37 :: v_dual_add_nc_u32 v37, 0x12f0, v71
	v_add_nc_u32_e32 v82, 0x1300, v71
	v_add_nc_u32_e32 v83, 0x1308, v71
	v_dual_add_f32 v57, v57, v78 :: v_dual_fmamk_f32 v78, v86, 0xbf75a155, v79
	v_add_f32_e32 v79, v91, v95
	s_delay_alu instid0(VALU_DEP_2)
	v_dual_add_f32 v57, v57, v78 :: v_dual_add_nc_u32 v86, 0x12e8, v71
	v_dual_add_f32 v81, v92, v81 :: v_dual_add_nc_u32 v78, 0x12f8, v71
	ds_store_2addr_b32 v37, v81, v90 offset1:1
	ds_store_2addr_b32 v78, v89, v80 offset1:1
	ds_store_2addr_b32 v82, v85, v84 offset1:1
	ds_store_2addr_b32 v83, v88, v79 offset1:1
	ds_store_2addr_b32 v86, v9, v0 offset1:1
	ds_store_b32 v71, v57 offset:4880
.LBB0_17:
	s_or_b32 exec_lo, exec_lo, s1
	v_dual_add_f32 v0, v58, v70 :: v_dual_sub_f32 v9, v69, v65
	v_add_f32_e32 v37, v66, v70
	v_add_f32_e32 v57, v68, v64
	s_delay_alu instid0(VALU_DEP_3) | instskip(NEXT) | instid1(VALU_DEP_4)
	v_dual_sub_f32 v41, v41, v43 :: v_dual_add_f32 v0, v0, v64
	v_dual_sub_f32 v63, v63, v67 :: v_dual_mul_f32 v64, 0xbf0a6770, v9
	v_sub_f32_e32 v27, v27, v29
	s_delay_alu instid0(VALU_DEP_3) | instskip(SKIP_1) | instid1(VALU_DEP_4)
	v_dual_sub_f32 v31, v31, v33 :: v_dual_add_f32 v0, v0, v60
	v_mul_f32_e32 v67, 0xbf7d64f0, v9
	v_dual_mul_f32 v65, 0xbf68dda4, v9 :: v_dual_mul_f32 v70, 0xbf68dda4, v63
	v_dual_mul_f32 v69, 0xbf4178ce, v9 :: v_dual_mul_f32 v78, 0xbf4178ce, v63
	s_delay_alu instid0(VALU_DEP_4) | instskip(SKIP_1) | instid1(VALU_DEP_2)
	v_dual_add_f32 v0, v0, v54 :: v_dual_mul_f32 v9, 0xbe903f40, v9
	s_waitcnt lgkmcnt(0)
	v_fmamk_f32 v83, v37, 0xbf27a4f4, v69
	v_fmamk_f32 v82, v37, 0xbe11bafb, v67
	s_delay_alu instid0(VALU_DEP_3) | instskip(SKIP_3) | instid1(VALU_DEP_4)
	v_dual_add_f32 v0, v0, v50 :: v_dual_mul_f32 v79, 0x3e903f40, v63
	v_fma_f32 v67, 0xbe11bafb, v37, -v67
	v_fmamk_f32 v80, v37, 0x3f575c64, v64
	v_fma_f32 v64, 0x3f575c64, v37, -v64
	v_dual_add_f32 v0, v0, v52 :: v_dual_fmamk_f32 v81, v37, 0x3ed4b147, v65
	v_fma_f32 v65, 0x3ed4b147, v37, -v65
	v_fma_f32 v69, 0xbf27a4f4, v37, -v69
	s_delay_alu instid0(VALU_DEP_4) | instskip(NEXT) | instid1(VALU_DEP_4)
	v_add_f32_e32 v64, v64, v58
	v_dual_add_f32 v0, v56, v0 :: v_dual_fmamk_f32 v85, v57, 0xbf27a4f4, v78
	v_add_f32_e32 v67, v67, v58
	v_add_f32_e32 v80, v80, v58
	v_fmamk_f32 v84, v37, 0xbf75a155, v9
	s_delay_alu instid0(VALU_DEP_4) | instskip(SKIP_3) | instid1(VALU_DEP_4)
	v_dual_add_f32 v0, v62, v0 :: v_dual_add_f32 v81, v81, v58
	v_fma_f32 v9, 0xbf75a155, v37, -v9
	v_fmamk_f32 v37, v57, 0x3ed4b147, v70
	v_fma_f32 v70, 0x3ed4b147, v57, -v70
	v_dual_add_f32 v0, v68, v0 :: v_dual_add_f32 v65, v65, v58
	v_add_f32_e32 v83, v83, v58
	v_add_f32_e32 v82, v82, v58
	;; [unrolled: 1-line block ×3, first 2 shown]
	s_delay_alu instid0(VALU_DEP_4) | instskip(SKIP_4) | instid1(VALU_DEP_4)
	v_add_f32_e32 v66, v66, v0
	v_fma_f32 v0, 0xbf27a4f4, v57, -v78
	v_add_f32_e32 v37, v80, v37
	v_add_f32_e32 v69, v84, v58
	v_fma_f32 v78, 0xbf75a155, v57, -v79
	v_dual_sub_f32 v59, v59, v61 :: v_dual_add_f32 v0, v65, v0
	v_mul_f32_e32 v65, 0x3f7d64f0, v63
	v_add_f32_e32 v9, v9, v58
	v_dual_add_f32 v58, v64, v70 :: v_dual_mul_f32 v63, 0x3f0a6770, v63
	v_fmamk_f32 v64, v57, 0xbf75a155, v79
	v_dual_add_f32 v70, v81, v85 :: v_dual_add_f32 v67, v67, v78
	v_dual_fmamk_f32 v61, v57, 0xbe11bafb, v65 :: v_dual_add_f32 v60, v62, v60
	v_fma_f32 v65, 0xbe11bafb, v57, -v65
	v_fmamk_f32 v78, v57, 0x3f575c64, v63
	v_mul_f32_e32 v62, 0xbf7d64f0, v59
	v_add_f32_e32 v64, v82, v64
	v_fma_f32 v57, 0x3f575c64, v57, -v63
	v_add_f32_e32 v63, v68, v65
	s_delay_alu instid0(VALU_DEP_4) | instskip(SKIP_1) | instid1(VALU_DEP_4)
	v_dual_add_f32 v65, v69, v78 :: v_dual_fmamk_f32 v68, v60, 0xbe11bafb, v62
	v_mul_f32_e32 v69, 0x3e903f40, v59
	v_add_f32_e32 v9, v9, v57
	v_fma_f32 v57, 0xbe11bafb, v60, -v62
	s_delay_alu instid0(VALU_DEP_4) | instskip(NEXT) | instid1(VALU_DEP_4)
	v_dual_mul_f32 v62, 0x3f68dda4, v59 :: v_dual_add_f32 v37, v37, v68
	v_dual_fmamk_f32 v68, v60, 0xbf75a155, v69 :: v_dual_add_f32 v61, v83, v61
	s_delay_alu instid0(VALU_DEP_2) | instskip(NEXT) | instid1(VALU_DEP_2)
	v_dual_add_f32 v57, v58, v57 :: v_dual_fmamk_f32 v58, v60, 0x3ed4b147, v62
	v_dual_sub_f32 v53, v53, v55 :: v_dual_add_f32 v68, v70, v68
	v_fma_f32 v69, 0xbf75a155, v60, -v69
	v_fma_f32 v62, 0x3ed4b147, v60, -v62
	s_delay_alu instid0(VALU_DEP_4) | instskip(SKIP_1) | instid1(VALU_DEP_3)
	v_dual_add_f32 v58, v64, v58 :: v_dual_mul_f32 v55, 0xbf4178ce, v59
	s_barrier
	v_dual_add_f32 v0, v0, v69 :: v_dual_mul_f32 v69, 0xbf0a6770, v59
	s_delay_alu instid0(VALU_DEP_3)
	v_add_f32_e32 v62, v67, v62
	buffer_gl0_inv
	v_dual_add_f32 v50, v52, v50 :: v_dual_sub_f32 v49, v49, v51
	v_fmamk_f32 v59, v60, 0x3f575c64, v69
	v_fma_f32 v64, 0x3f575c64, v60, -v69
	v_add_f32_e32 v54, v56, v54
	v_mul_f32_e32 v56, 0xbf4178ce, v53
	s_delay_alu instid0(VALU_DEP_4) | instskip(NEXT) | instid1(VALU_DEP_4)
	v_dual_mul_f32 v52, 0xbe903f40, v49 :: v_dual_add_f32 v59, v61, v59
	v_add_f32_e32 v61, v63, v64
	v_fmamk_f32 v67, v60, 0xbf27a4f4, v55
	v_fma_f32 v55, 0xbf27a4f4, v60, -v55
	v_fmamk_f32 v60, v54, 0xbf27a4f4, v56
	v_fma_f32 v56, 0xbf27a4f4, v54, -v56
	s_delay_alu instid0(VALU_DEP_4) | instskip(NEXT) | instid1(VALU_DEP_4)
	v_dual_mul_f32 v64, 0x3f7d64f0, v53 :: v_dual_add_f32 v63, v65, v67
	v_add_f32_e32 v9, v9, v55
	s_delay_alu instid0(VALU_DEP_3) | instskip(SKIP_1) | instid1(VALU_DEP_4)
	v_dual_mul_f32 v55, 0xbf0a6770, v53 :: v_dual_add_f32 v56, v57, v56
	v_add_f32_e32 v37, v37, v60
	v_fma_f32 v60, 0xbe11bafb, v54, -v64
	v_fmamk_f32 v57, v54, 0xbe11bafb, v64
	v_mul_f32_e32 v64, 0xbe903f40, v53
	v_fmamk_f32 v65, v54, 0x3f575c64, v55
	v_fma_f32 v55, 0x3f575c64, v54, -v55
	v_dual_add_f32 v0, v0, v60 :: v_dual_mul_f32 v53, 0x3f68dda4, v53
	s_delay_alu instid0(VALU_DEP_4) | instskip(NEXT) | instid1(VALU_DEP_3)
	v_dual_fmamk_f32 v60, v54, 0xbf75a155, v64 :: v_dual_add_f32 v57, v68, v57
	v_add_f32_e32 v55, v62, v55
	v_fma_f32 v62, 0xbf75a155, v54, -v64
	s_delay_alu instid0(VALU_DEP_3) | instskip(NEXT) | instid1(VALU_DEP_2)
	v_dual_add_f32 v58, v58, v65 :: v_dual_add_f32 v59, v59, v60
	v_dual_fmamk_f32 v60, v54, 0x3ed4b147, v53 :: v_dual_add_f32 v61, v61, v62
	v_fmamk_f32 v62, v50, 0xbf75a155, v52
	s_delay_alu instid0(VALU_DEP_2) | instskip(SKIP_3) | instid1(VALU_DEP_4)
	v_dual_add_f32 v51, v38, v46 :: v_dual_add_f32 v60, v63, v60
	v_fma_f32 v53, 0x3ed4b147, v54, -v53
	v_mul_f32_e32 v54, 0x3f0a6770, v49
	v_fma_f32 v52, 0xbf75a155, v50, -v52
	v_add_f32_e32 v51, v51, v42
	v_add_f32_e32 v63, v37, v62
	;; [unrolled: 1-line block ×3, first 2 shown]
	s_delay_alu instid0(VALU_DEP_4) | instskip(SKIP_3) | instid1(VALU_DEP_3)
	v_dual_fmamk_f32 v53, v50, 0x3f575c64, v54 :: v_dual_add_f32 v52, v56, v52
	v_fma_f32 v54, 0x3f575c64, v50, -v54
	v_dual_mul_f32 v56, 0x3f68dda4, v49 :: v_dual_add_f32 v51, v51, v36
	v_dual_add_f32 v46, v48, v46 :: v_dual_sub_f32 v45, v45, v47
	v_add_f32_e32 v64, v0, v54
	s_delay_alu instid0(VALU_DEP_3) | instskip(SKIP_2) | instid1(VALU_DEP_3)
	v_dual_add_f32 v42, v44, v42 :: v_dual_add_f32 v37, v51, v32
	v_dual_add_f32 v36, v40, v36 :: v_dual_sub_f32 v35, v35, v39
	v_add_f32_e32 v32, v34, v32
	v_add_f32_e32 v37, v37, v28
	;; [unrolled: 1-line block ×3, first 2 shown]
	s_delay_alu instid0(VALU_DEP_2) | instskip(SKIP_1) | instid1(VALU_DEP_2)
	v_dual_add_f32 v0, v37, v30 :: v_dual_fmamk_f32 v37, v50, 0x3ed4b147, v56
	v_mul_f32_e32 v30, 0xbe903f40, v27
	v_dual_add_f32 v0, v34, v0 :: v_dual_mul_f32 v51, 0xbf4178ce, v49
	v_mul_f32_e32 v49, 0xbf7d64f0, v49
	s_delay_alu instid0(VALU_DEP_4) | instskip(SKIP_1) | instid1(VALU_DEP_4)
	v_add_f32_e32 v68, v59, v37
	v_fma_f32 v37, 0x3ed4b147, v50, -v56
	v_dual_add_f32 v0, v40, v0 :: v_dual_add_f32 v53, v57, v53
	s_delay_alu instid0(VALU_DEP_4) | instskip(SKIP_2) | instid1(VALU_DEP_4)
	v_fmamk_f32 v47, v50, 0xbe11bafb, v49
	v_fmamk_f32 v57, v50, 0xbf27a4f4, v51
	v_fma_f32 v51, 0xbf27a4f4, v50, -v51
	v_add_f32_e32 v0, v44, v0
	v_fma_f32 v49, 0xbe11bafb, v50, -v49
	v_add_f32_e32 v60, v60, v47
	s_delay_alu instid0(VALU_DEP_4) | instskip(NEXT) | instid1(VALU_DEP_4)
	v_dual_mul_f32 v50, 0xbf0a6770, v45 :: v_dual_add_f32 v67, v55, v51
	v_dual_add_f32 v69, v48, v0 :: v_dual_mul_f32 v44, 0xbf68dda4, v41
	v_mul_f32_e32 v48, 0xbf7d64f0, v45
	v_add_f32_e32 v61, v61, v37
	s_delay_alu instid0(VALU_DEP_4) | instskip(SKIP_1) | instid1(VALU_DEP_4)
	v_fmamk_f32 v37, v46, 0x3f575c64, v50
	v_fma_f32 v0, 0x3f575c64, v46, -v50
	v_dual_add_f32 v9, v9, v49 :: v_dual_fmamk_f32 v50, v46, 0xbe11bafb, v48
	v_mul_f32_e32 v43, 0xbe903f40, v45
	s_delay_alu instid0(VALU_DEP_3) | instskip(SKIP_2) | instid1(VALU_DEP_4)
	v_dual_mul_f32 v51, 0xbf4178ce, v45 :: v_dual_add_f32 v0, v0, v38
	v_fma_f32 v48, 0xbe11bafb, v46, -v48
	v_mul_f32_e32 v55, 0xbf4178ce, v41
	v_fmamk_f32 v54, v46, 0xbf75a155, v43
	v_mul_f32_e32 v47, 0xbf68dda4, v45
	v_fmamk_f32 v45, v46, 0xbf27a4f4, v51
	v_fma_f32 v51, 0xbf27a4f4, v46, -v51
	v_fma_f32 v43, 0xbf75a155, v46, -v43
	v_add_f32_e32 v54, v54, v38
	v_fmamk_f32 v49, v46, 0x3ed4b147, v47
	v_fma_f32 v47, 0x3ed4b147, v46, -v47
	v_fmamk_f32 v46, v42, 0x3ed4b147, v44
	v_fma_f32 v44, 0x3ed4b147, v42, -v44
	v_dual_add_f32 v65, v58, v57 :: v_dual_add_f32 v48, v48, v38
	s_delay_alu instid0(VALU_DEP_4) | instskip(NEXT) | instid1(VALU_DEP_3)
	v_add_f32_e32 v47, v47, v38
	v_dual_add_f32 v37, v37, v38 :: v_dual_add_f32 v0, v0, v44
	v_fma_f32 v44, 0xbf27a4f4, v42, -v55
	v_add_f32_e32 v49, v49, v38
	v_add_f32_e32 v50, v50, v38
	v_dual_add_f32 v45, v45, v38 :: v_dual_mul_f32 v40, 0xbf7d64f0, v35
	v_add_f32_e32 v51, v51, v38
	v_add_f32_e32 v38, v43, v38
	v_dual_add_f32 v44, v47, v44 :: v_dual_mul_f32 v43, 0x3e903f40, v41
	v_mul_f32_e32 v34, 0xbf4178ce, v31
	s_delay_alu instid0(VALU_DEP_2) | instskip(SKIP_1) | instid1(VALU_DEP_1)
	v_fmamk_f32 v56, v42, 0xbf75a155, v43
	v_fma_f32 v43, 0xbf75a155, v42, -v43
	v_add_f32_e32 v43, v48, v43
	v_dual_fmamk_f32 v48, v36, 0xbe11bafb, v40 :: v_dual_add_f32 v37, v37, v46
	v_fmamk_f32 v46, v42, 0xbf27a4f4, v55
	v_mul_f32_e32 v55, 0x3f7d64f0, v41
	v_fma_f32 v40, 0xbe11bafb, v36, -v40
	s_delay_alu instid0(VALU_DEP_3) | instskip(NEXT) | instid1(VALU_DEP_2)
	v_dual_mul_f32 v41, 0x3f0a6770, v41 :: v_dual_add_f32 v46, v49, v46
	v_dual_add_f32 v0, v0, v40 :: v_dual_fmamk_f32 v47, v42, 0xbe11bafb, v55
	s_delay_alu instid0(VALU_DEP_1) | instskip(NEXT) | instid1(VALU_DEP_3)
	v_add_f32_e32 v39, v45, v47
	v_fmamk_f32 v47, v42, 0x3f575c64, v41
	v_fma_f32 v41, 0x3f575c64, v42, -v41
	v_fma_f32 v45, 0xbe11bafb, v42, -v55
	s_delay_alu instid0(VALU_DEP_2) | instskip(NEXT) | instid1(VALU_DEP_2)
	v_dual_add_f32 v38, v38, v41 :: v_dual_mul_f32 v41, 0x3f68dda4, v35
	v_dual_add_f32 v42, v51, v45 :: v_dual_add_f32 v45, v54, v47
	s_delay_alu instid0(VALU_DEP_2) | instskip(SKIP_3) | instid1(VALU_DEP_3)
	v_dual_add_f32 v37, v37, v48 :: v_dual_fmamk_f32 v40, v36, 0x3ed4b147, v41
	v_mul_f32_e32 v47, 0x3e903f40, v35
	v_add_f32_e32 v49, v50, v56
	v_fma_f32 v41, 0x3ed4b147, v36, -v41
	v_fmamk_f32 v50, v36, 0xbf75a155, v47
	v_fma_f32 v47, 0xbf75a155, v36, -v47
	s_delay_alu instid0(VALU_DEP_3) | instskip(NEXT) | instid1(VALU_DEP_3)
	v_dual_add_f32 v40, v49, v40 :: v_dual_add_f32 v41, v43, v41
	v_add_f32_e32 v46, v46, v50
	s_delay_alu instid0(VALU_DEP_3) | instskip(SKIP_2) | instid1(VALU_DEP_2)
	v_add_f32_e32 v44, v44, v47
	v_mul_f32_e32 v47, 0xbf0a6770, v35
	v_mul_f32_e32 v35, 0xbf4178ce, v35
	v_fmamk_f32 v33, v36, 0x3f575c64, v47
	v_fma_f32 v43, 0x3f575c64, v36, -v47
	s_delay_alu instid0(VALU_DEP_2) | instskip(NEXT) | instid1(VALU_DEP_2)
	v_add_f32_e32 v33, v39, v33
	v_dual_add_f32 v39, v42, v43 :: v_dual_fmamk_f32 v42, v32, 0xbf27a4f4, v34
	v_fma_f32 v34, 0xbf27a4f4, v32, -v34
	s_delay_alu instid0(VALU_DEP_1) | instskip(NEXT) | instid1(VALU_DEP_1)
	v_dual_add_f32 v0, v0, v34 :: v_dual_mul_f32 v43, 0x3f7d64f0, v31
	v_fma_f32 v34, 0xbe11bafb, v32, -v43
	s_delay_alu instid0(VALU_DEP_1) | instskip(SKIP_2) | instid1(VALU_DEP_1)
	v_add_f32_e32 v34, v44, v34
	v_fmamk_f32 v47, v36, 0xbf27a4f4, v35
	v_fma_f32 v35, 0xbf27a4f4, v36, -v35
	v_add_f32_e32 v35, v38, v35
	v_dual_mul_f32 v38, 0xbf0a6770, v31 :: v_dual_add_f32 v37, v37, v42
	v_fmamk_f32 v42, v32, 0xbe11bafb, v43
	v_add_f32_e32 v36, v45, v47
	v_mul_f32_e32 v45, 0xbe903f40, v31
	s_delay_alu instid0(VALU_DEP_4) | instskip(SKIP_2) | instid1(VALU_DEP_4)
	v_fmamk_f32 v43, v32, 0x3f575c64, v38
	v_fma_f32 v38, 0x3f575c64, v32, -v38
	v_dual_mul_f32 v31, 0x3f68dda4, v31 :: v_dual_add_f32 v42, v46, v42
	v_fmamk_f32 v29, v32, 0xbf75a155, v45
	s_delay_alu instid0(VALU_DEP_4) | instskip(NEXT) | instid1(VALU_DEP_4)
	v_add_f32_e32 v40, v40, v43
	v_add_f32_e32 v38, v41, v38
	v_fma_f32 v41, 0xbf75a155, v32, -v45
	s_delay_alu instid0(VALU_DEP_4) | instskip(SKIP_4) | instid1(VALU_DEP_2)
	v_add_f32_e32 v29, v33, v29
	v_fmamk_f32 v33, v32, 0x3ed4b147, v31
	v_fma_f32 v31, 0x3ed4b147, v32, -v31
	v_fmamk_f32 v32, v28, 0xbf75a155, v30
	v_fma_f32 v30, 0xbf75a155, v28, -v30
	v_dual_add_f32 v70, v36, v33 :: v_dual_add_f32 v79, v37, v32
	s_delay_alu instid0(VALU_DEP_2) | instskip(SKIP_1) | instid1(VALU_DEP_1)
	v_add_f32_e32 v80, v0, v30
	v_mul_f32_e32 v0, 0x3f68dda4, v27
	v_fmamk_f32 v33, v28, 0x3ed4b147, v0
	v_fma_f32 v86, 0x3ed4b147, v28, -v0
	v_mad_i32_i24 v0, 0xffffffd8, v77, v71
	v_add_f32_e32 v51, v39, v41
	s_delay_alu instid0(VALU_DEP_2)
	v_dual_add_f32 v85, v29, v33 :: v_dual_add_nc_u32 v58, 0xc00, v0
	v_add_nc_u32_e32 v56, 0x800, v0
	v_mul_f32_e32 v39, 0x3f0a6770, v27
	v_mul_f32_e32 v32, 0xbf4178ce, v27
	v_add_nc_u32_e32 v54, 0x200, v0
	v_add_f32_e32 v78, v35, v31
	v_mul_f32_e32 v27, 0xbf7d64f0, v27
	v_fmamk_f32 v31, v28, 0x3f575c64, v39
	v_fma_f32 v30, 0x3f575c64, v28, -v39
	v_add_nc_u32_e32 v57, 0x1000, v0
	v_add_nc_u32_e32 v55, 0x400, v0
	;; [unrolled: 1-line block ×3, first 2 shown]
	v_add_f32_e32 v81, v42, v31
	v_fmamk_f32 v31, v28, 0xbf27a4f4, v32
	v_fma_f32 v32, 0xbf27a4f4, v28, -v32
	v_dual_add_f32 v82, v34, v30 :: v_dual_fmamk_f32 v87, v28, 0xbe11bafb, v27
	v_fma_f32 v88, 0xbe11bafb, v28, -v27
	s_delay_alu instid0(VALU_DEP_3)
	v_dual_add_f32 v83, v40, v31 :: v_dual_add_f32 v84, v38, v32
	ds_load_2addr_b32 v[29:30], v0 offset1:55
	ds_load_2addr_b32 v[27:28], v54 offset0:92 offset1:147
	ds_load_2addr_b32 v[47:48], v56 offset0:38 offset1:93
	ds_load_2addr_b32 v[49:50], v58 offset0:2 offset1:57
	ds_load_2addr_b32 v[35:36], v57 offset0:76 offset1:131
	ds_load_2addr_b32 v[45:46], v55 offset0:74 offset1:129
	ds_load_2addr_b32 v[43:44], v58 offset0:112 offset1:167
	ds_load_2addr_b32 v[31:32], v0 offset0:110 offset1:165
	ds_load_2addr_b32 v[37:38], v56 offset0:148 offset1:203
	ds_load_2addr_b32 v[33:34], v57 offset0:186 offset1:241
	ds_load_2addr_b32 v[41:42], v55 offset0:184 offset1:239
	ds_load_2addr_b32 v[39:40], v59 offset0:94 offset1:149
	ds_load_b32 v62, v0 offset:5280
	v_dual_add_f32 v86, v51, v86 :: v_dual_add_nc_u32 v51, 0x6e, v77
	v_add_f32_e32 v70, v70, v87
	v_add_f32_e32 v78, v78, v88
	s_waitcnt lgkmcnt(0)
	s_barrier
	buffer_gl0_inv
	ds_store_2addr_b32 v71, v66, v63 offset1:1
	ds_store_2addr_b32 v71, v53, v65 offset0:2 offset1:3
	ds_store_2addr_b32 v71, v68, v60 offset0:4 offset1:5
	;; [unrolled: 1-line block ×4, first 2 shown]
	ds_store_b32 v71, v52 offset:40
	ds_store_2addr_b32 v73, v81, v83 offset1:1
	ds_store_2addr_b32 v74, v85, v70 offset1:1
	ds_store_2addr_b32 v75, v78, v86 offset1:1
	ds_store_2addr_b32 v76, v84, v82 offset1:1
	ds_store_2addr_b32 v72, v69, v79 offset1:1
	ds_store_b32 v71, v80 offset:2460
	s_and_saveexec_b32 s1, s0
	s_cbranch_execz .LBB0_19
; %bb.18:
	v_sub_f32_e32 v19, v25, v19
	v_add_f32_e32 v9, v10, v26
	v_dual_add_f32 v25, v26, v20 :: v_dual_add_f32 v26, v24, v22
	s_delay_alu instid0(VALU_DEP_3)
	v_dual_sub_f32 v15, v15, v17 :: v_dual_mul_f32 v52, 0xbf7d64f0, v19
	v_sub_f32_e32 v21, v23, v21
	v_mul_f32_e32 v23, 0xbf0a6770, v19
	v_sub_f32_e32 v11, v11, v13
	v_sub_f32_e32 v5, v5, v7
	v_fmamk_f32 v66, v25, 0xbe11bafb, v52
	v_fma_f32 v52, 0xbe11bafb, v25, -v52
	v_fmamk_f32 v64, v25, 0x3f575c64, v23
	v_dual_add_f32 v9, v9, v24 :: v_dual_mul_f32 v60, 0xbf68dda4, v21
	v_mul_f32_e32 v24, 0xbf68dda4, v19
	v_add_f32_e32 v66, v10, v66
	s_delay_alu instid0(VALU_DEP_4) | instskip(NEXT) | instid1(VALU_DEP_4)
	v_add_f32_e32 v64, v10, v64
	v_add_f32_e32 v9, v9, v16
	v_fma_f32 v23, 0x3f575c64, v25, -v23
	v_fmamk_f32 v65, v25, 0x3ed4b147, v24
	v_fma_f32 v24, 0x3ed4b147, v25, -v24
	v_mul_f32_e32 v53, 0xbf4178ce, v19
	v_dual_mul_f32 v19, 0xbe903f40, v19 :: v_dual_add_f32 v52, v10, v52
	v_add_f32_e32 v16, v16, v18
	s_delay_alu instid0(VALU_DEP_3)
	v_dual_add_f32 v24, v10, v24 :: v_dual_fmamk_f32 v67, v25, 0xbf27a4f4, v53
	v_fma_f32 v53, 0xbf27a4f4, v25, -v53
	v_add_f32_e32 v9, v9, v12
	v_dual_fmamk_f32 v68, v25, 0xbf75a155, v19 :: v_dual_add_f32 v23, v10, v23
	v_fma_f32 v19, 0xbf75a155, v25, -v19
	v_mul_f32_e32 v61, 0xbf4178ce, v21
	s_delay_alu instid0(VALU_DEP_4) | instskip(SKIP_3) | instid1(VALU_DEP_4)
	v_add_f32_e32 v9, v9, v6
	v_add_f32_e32 v67, v10, v67
	v_dual_mul_f32 v17, 0x3f0a6770, v21 :: v_dual_add_f32 v12, v12, v14
	v_add_f32_e32 v6, v6, v8
	v_dual_add_f32 v9, v9, v8 :: v_dual_mul_f32 v8, 0xbe903f40, v5
	s_delay_alu instid0(VALU_DEP_1) | instskip(NEXT) | instid1(VALU_DEP_1)
	v_dual_add_f32 v9, v14, v9 :: v_dual_mul_f32 v14, 0xbf4178ce, v11
	v_dual_add_f32 v9, v18, v9 :: v_dual_mul_f32 v18, 0xbf7d64f0, v15
	v_add_f32_e32 v65, v10, v65
	s_delay_alu instid0(VALU_DEP_2)
	v_add_f32_e32 v9, v22, v9
	v_add_f32_e32 v22, v10, v53
	;; [unrolled: 1-line block ×3, first 2 shown]
	v_fmamk_f32 v25, v26, 0x3ed4b147, v60
	v_fma_f32 v60, 0x3ed4b147, v26, -v60
	v_dual_add_f32 v10, v10, v19 :: v_dual_add_f32 v9, v20, v9
	v_fma_f32 v20, 0xbf27a4f4, v26, -v61
	v_mul_f32_e32 v63, 0x3e903f40, v21
	s_delay_alu instid0(VALU_DEP_4) | instskip(SKIP_1) | instid1(VALU_DEP_4)
	v_add_f32_e32 v23, v23, v60
	v_add_f32_e32 v19, v64, v25
	;; [unrolled: 1-line block ×3, first 2 shown]
	s_delay_alu instid0(VALU_DEP_4) | instskip(SKIP_1) | instid1(VALU_DEP_2)
	v_fma_f32 v60, 0xbf75a155, v26, -v63
	v_mul_f32_e32 v24, 0x3f7d64f0, v21
	v_dual_fmamk_f32 v25, v26, 0xbf75a155, v63 :: v_dual_add_f32 v52, v52, v60
	s_delay_alu instid0(VALU_DEP_2) | instskip(SKIP_4) | instid1(VALU_DEP_4)
	v_fmamk_f32 v21, v26, 0xbe11bafb, v24
	v_fma_f32 v24, 0xbe11bafb, v26, -v24
	v_fmamk_f32 v60, v26, 0x3f575c64, v17
	v_fma_f32 v17, 0x3f575c64, v26, -v17
	v_add_f32_e32 v25, v66, v25
	v_add_f32_e32 v22, v22, v24
	v_fmamk_f32 v24, v16, 0xbe11bafb, v18
	v_fma_f32 v18, 0xbe11bafb, v16, -v18
	v_add_f32_e32 v10, v10, v17
	v_dual_fmamk_f32 v69, v26, 0xbf27a4f4, v61 :: v_dual_add_f32 v26, v53, v60
	v_mul_f32_e32 v53, 0x3e903f40, v15
	v_add_f32_e32 v17, v19, v24
	v_dual_mul_f32 v19, 0x3f68dda4, v15 :: v_dual_add_f32 v18, v23, v18
	s_delay_alu instid0(VALU_DEP_3) | instskip(SKIP_2) | instid1(VALU_DEP_4)
	v_dual_add_f32 v61, v65, v69 :: v_dual_fmamk_f32 v24, v16, 0xbf75a155, v53
	v_fma_f32 v23, 0xbf75a155, v16, -v53
	v_mul_f32_e32 v53, 0xbf0a6770, v15
	v_dual_fmamk_f32 v60, v16, 0x3ed4b147, v19 :: v_dual_add_f32 v21, v67, v21
	v_mul_f32_e32 v15, 0xbf4178ce, v15
	s_delay_alu instid0(VALU_DEP_4) | instskip(NEXT) | instid1(VALU_DEP_4)
	v_add_f32_e32 v20, v20, v23
	v_fmamk_f32 v23, v16, 0x3f575c64, v53
	v_fma_f32 v19, 0x3ed4b147, v16, -v19
	v_add_f32_e32 v24, v61, v24
	s_delay_alu instid0(VALU_DEP_3) | instskip(SKIP_3) | instid1(VALU_DEP_3)
	v_add_f32_e32 v13, v21, v23
	v_fma_f32 v21, 0x3f575c64, v16, -v53
	v_fmamk_f32 v23, v16, 0xbf27a4f4, v15
	v_fma_f32 v15, 0xbf27a4f4, v16, -v15
	v_dual_add_f32 v19, v52, v19 :: v_dual_add_f32 v16, v22, v21
	v_mul_f32_e32 v22, 0x3f7d64f0, v11
	s_delay_alu instid0(VALU_DEP_4) | instskip(NEXT) | instid1(VALU_DEP_4)
	v_add_f32_e32 v21, v26, v23
	v_dual_fmamk_f32 v23, v12, 0xbf27a4f4, v14 :: v_dual_add_f32 v10, v10, v15
	v_fma_f32 v14, 0xbf27a4f4, v12, -v14
	v_mul_f32_e32 v15, 0xbf0a6770, v11
	v_fmamk_f32 v26, v12, 0xbe11bafb, v22
	v_fma_f32 v22, 0xbe11bafb, v12, -v22
	s_delay_alu instid0(VALU_DEP_4) | instskip(NEXT) | instid1(VALU_DEP_4)
	v_dual_add_f32 v25, v25, v60 :: v_dual_add_f32 v14, v18, v14
	v_fmamk_f32 v18, v12, 0x3f575c64, v15
	v_fma_f32 v15, 0x3f575c64, v12, -v15
	s_delay_alu instid0(VALU_DEP_4) | instskip(SKIP_1) | instid1(VALU_DEP_4)
	v_add_f32_e32 v20, v20, v22
	v_mul_f32_e32 v22, 0xbe903f40, v11
	v_dual_mul_f32 v11, 0x3f68dda4, v11 :: v_dual_add_f32 v18, v25, v18
	s_delay_alu instid0(VALU_DEP_4) | instskip(NEXT) | instid1(VALU_DEP_3)
	v_add_f32_e32 v15, v19, v15
	v_fmamk_f32 v7, v12, 0xbf75a155, v22
	v_fma_f32 v19, 0xbf75a155, v12, -v22
	s_delay_alu instid0(VALU_DEP_4) | instskip(SKIP_1) | instid1(VALU_DEP_4)
	v_fmamk_f32 v22, v12, 0x3ed4b147, v11
	v_fma_f32 v11, 0x3ed4b147, v12, -v11
	v_add_f32_e32 v7, v13, v7
	s_delay_alu instid0(VALU_DEP_4) | instskip(SKIP_1) | instid1(VALU_DEP_4)
	v_add_f32_e32 v12, v16, v19
	v_fmamk_f32 v16, v6, 0xbf75a155, v8
	v_add_f32_e32 v10, v10, v11
	v_fma_f32 v8, 0xbf75a155, v6, -v8
	v_mul_f32_e32 v11, 0xbf4178ce, v5
	v_add_f32_e32 v13, v21, v22
	v_mul_f32_e32 v19, 0x3f0a6770, v5
	s_delay_alu instid0(VALU_DEP_4) | instskip(NEXT) | instid1(VALU_DEP_4)
	v_dual_mul_f32 v21, 0x3f68dda4, v5 :: v_dual_add_f32 v8, v14, v8
	v_dual_fmamk_f32 v14, v6, 0xbf27a4f4, v11 :: v_dual_add_f32 v17, v17, v23
	v_mul_f32_e32 v5, 0xbf7d64f0, v5
	v_fma_f32 v11, 0xbf27a4f4, v6, -v11
	v_add_f32_e32 v23, v24, v26
	s_delay_alu instid0(VALU_DEP_4) | instskip(SKIP_3) | instid1(VALU_DEP_1)
	v_add_f32_e32 v14, v18, v14
	v_fmamk_f32 v18, v6, 0x3ed4b147, v21
	v_dual_add_f32 v16, v17, v16 :: v_dual_fmamk_f32 v17, v6, 0x3f575c64, v19
	v_fma_f32 v19, 0x3f575c64, v6, -v19
	v_add_f32_e32 v19, v20, v19
	v_fma_f32 v20, 0x3ed4b147, v6, -v21
	v_fmamk_f32 v21, v6, 0xbe11bafb, v5
	v_fma_f32 v5, 0xbe11bafb, v6, -v5
	v_add_f32_e32 v6, v7, v18
	v_mad_u32_u24 v7, v51, 44, 0
	s_delay_alu instid0(VALU_DEP_4) | instskip(NEXT) | instid1(VALU_DEP_4)
	v_dual_add_f32 v12, v12, v20 :: v_dual_add_f32 v13, v13, v21
	v_dual_add_f32 v5, v10, v5 :: v_dual_add_f32 v10, v15, v11
	v_add_f32_e32 v17, v23, v17
	ds_store_2addr_b32 v7, v9, v16 offset1:1
	ds_store_2addr_b32 v7, v17, v14 offset0:2 offset1:3
	ds_store_2addr_b32 v7, v6, v13 offset0:4 offset1:5
	;; [unrolled: 1-line block ×4, first 2 shown]
	ds_store_b32 v7, v8 offset:40
.LBB0_19:
	s_or_b32 exec_lo, exec_lo, s1
	v_and_b32_e32 v5, 0xff, v77
	v_add_nc_u32_e32 v52, 0xdc, v77
	s_waitcnt lgkmcnt(0)
	s_barrier
	buffer_gl0_inv
	v_mul_lo_u16 v5, 0x75, v5
	v_and_b32_e32 v16, 0xffff, v52
	s_delay_alu instid0(VALU_DEP_2) | instskip(NEXT) | instid1(VALU_DEP_2)
	v_lshrrev_b16 v5, 8, v5
	v_mul_u32_u24_e32 v6, 0xba2f, v16
	s_delay_alu instid0(VALU_DEP_2) | instskip(NEXT) | instid1(VALU_DEP_2)
	v_sub_nc_u16 v7, v77, v5
	v_lshrrev_b32_e32 v9, 19, v6
	s_delay_alu instid0(VALU_DEP_2) | instskip(NEXT) | instid1(VALU_DEP_2)
	v_lshrrev_b16 v6, 1, v7
	v_mul_lo_u16 v7, v9, 11
	v_mul_u32_u24_e32 v9, 0xdc, v9
	s_delay_alu instid0(VALU_DEP_3) | instskip(NEXT) | instid1(VALU_DEP_3)
	v_and_b32_e32 v6, 0x7f, v6
	v_sub_nc_u16 v7, v52, v7
	s_delay_alu instid0(VALU_DEP_2) | instskip(NEXT) | instid1(VALU_DEP_2)
	v_add_nc_u16 v5, v6, v5
	v_and_b32_e32 v19, 0xffff, v7
	s_delay_alu instid0(VALU_DEP_2) | instskip(NEXT) | instid1(VALU_DEP_2)
	v_lshrrev_b16 v10, 3, v5
	v_lshlrev_b32_e32 v5, 5, v19
	s_clause 0x1
	global_load_b128 v[20:23], v5, s[8:9]
	global_load_b128 v[63:66], v5, s[8:9] offset:16
	v_add_nc_u32_e32 v53, 55, v77
	v_and_b32_e32 v18, 0xff, v51
	s_delay_alu instid0(VALU_DEP_2) | instskip(NEXT) | instid1(VALU_DEP_2)
	v_and_b32_e32 v8, 0xff, v53
	v_mul_lo_u16 v11, 0x75, v18
	s_delay_alu instid0(VALU_DEP_2) | instskip(NEXT) | instid1(VALU_DEP_1)
	v_mul_lo_u16 v8, 0x75, v8
	v_lshrrev_b16 v6, 8, v8
	v_mul_lo_u16 v8, v10, 11
	v_and_b32_e32 v10, 0xffff, v10
	s_delay_alu instid0(VALU_DEP_3) | instskip(NEXT) | instid1(VALU_DEP_3)
	v_sub_nc_u16 v7, v53, v6
	v_sub_nc_u16 v8, v77, v8
	s_delay_alu instid0(VALU_DEP_3) | instskip(NEXT) | instid1(VALU_DEP_3)
	v_mul_u32_u24_e32 v10, 0xdc, v10
	v_lshrrev_b16 v7, 1, v7
	s_delay_alu instid0(VALU_DEP_3) | instskip(SKIP_1) | instid1(VALU_DEP_2)
	v_and_b32_e32 v24, 0xff, v8
	s_waitcnt vmcnt(0)
	v_dual_mul_f32 v26, v62, v66 :: v_dual_and_b32 v5, 0x7f, v7
	v_mul_f32_e32 v25, v40, v64
	v_lshrrev_b16 v7, 8, v11
	s_delay_alu instid0(VALU_DEP_3) | instskip(SKIP_1) | instid1(VALU_DEP_3)
	v_add_nc_u16 v5, v5, v6
	v_lshlrev_b32_e32 v6, 5, v24
	v_sub_nc_u16 v8, v51, v7
	s_delay_alu instid0(VALU_DEP_3)
	v_lshrrev_b16 v11, 3, v5
	s_clause 0x1
	global_load_b128 v[67:70], v6, s[8:9]
	global_load_b128 v[71:74], v6, s[8:9] offset:16
	v_add_nc_u32_e32 v60, 0xa5, v77
	v_lshrrev_b16 v5, 1, v8
	v_mul_lo_u16 v8, v11, 11
	v_and_b32_e32 v11, 0xffff, v11
	s_delay_alu instid0(VALU_DEP_4) | instskip(NEXT) | instid1(VALU_DEP_4)
	v_and_b32_e32 v17, 0xff, v60
	v_and_b32_e32 v5, 0x7f, v5
	s_delay_alu instid0(VALU_DEP_4) | instskip(NEXT) | instid1(VALU_DEP_3)
	v_sub_nc_u16 v8, v53, v8
	v_mul_lo_u16 v12, 0x75, v17
	s_delay_alu instid0(VALU_DEP_3) | instskip(NEXT) | instid1(VALU_DEP_3)
	v_add_nc_u16 v5, v5, v7
	v_and_b32_e32 v114, 0xff, v8
	s_delay_alu instid0(VALU_DEP_3) | instskip(NEXT) | instid1(VALU_DEP_3)
	v_lshrrev_b16 v6, 8, v12
	v_lshrrev_b16 v12, 3, v5
	s_delay_alu instid0(VALU_DEP_3) | instskip(NEXT) | instid1(VALU_DEP_3)
	v_lshlrev_b32_e32 v5, 5, v114
	v_sub_nc_u16 v7, v60, v6
	s_delay_alu instid0(VALU_DEP_3)
	v_mul_lo_u16 v8, v12, 11
	s_clause 0x1
	global_load_b128 v[78:81], v5, s[8:9]
	global_load_b128 v[90:93], v5, s[8:9] offset:16
	v_lshrrev_b16 v7, 1, v7
	v_sub_nc_u16 v8, v51, v8
	s_delay_alu instid0(VALU_DEP_2) | instskip(NEXT) | instid1(VALU_DEP_2)
	v_and_b32_e32 v7, 0x7f, v7
	v_and_b32_e32 v115, 0xff, v8
	s_delay_alu instid0(VALU_DEP_2) | instskip(NEXT) | instid1(VALU_DEP_2)
	v_add_nc_u16 v6, v7, v6
	v_lshlrev_b32_e32 v7, 5, v115
	s_delay_alu instid0(VALU_DEP_2) | instskip(SKIP_4) | instid1(VALU_DEP_1)
	v_lshrrev_b16 v13, 3, v6
	s_clause 0x1
	global_load_b128 v[82:85], v7, s[8:9]
	global_load_b128 v[86:89], v7, s[8:9] offset:16
	v_mul_lo_u16 v6, v13, 11
	v_sub_nc_u16 v6, v60, v6
	s_delay_alu instid0(VALU_DEP_1) | instskip(NEXT) | instid1(VALU_DEP_1)
	v_and_b32_e32 v116, 0xff, v6
	v_lshlrev_b32_e32 v5, 5, v116
	s_clause 0x1
	global_load_b128 v[94:97], v5, s[8:9]
	global_load_b128 v[98:101], v5, s[8:9] offset:16
	ds_load_2addr_b32 v[75:76], v55 offset0:184 offset1:239
	ds_load_2addr_b32 v[102:103], v58 offset0:2 offset1:57
	;; [unrolled: 1-line block ×3, first 2 shown]
	ds_load_b32 v117, v0 offset:5280
	ds_load_2addr_b32 v[5:6], v0 offset1:55
	ds_load_2addr_b32 v[7:8], v54 offset0:92 offset1:147
	ds_load_2addr_b32 v[106:107], v56 offset0:38 offset1:93
	;; [unrolled: 1-line block ×5, first 2 shown]
	s_waitcnt lgkmcnt(9)
	v_mul_f32_e32 v14, v76, v21
	v_mul_f32_e32 v21, v42, v21
	s_waitcnt lgkmcnt(8)
	v_mul_f32_e32 v15, v102, v23
	v_mul_f32_e32 v23, v49, v23
	s_waitcnt lgkmcnt(7)
	v_mul_f32_e32 v118, v105, v64
	s_waitcnt lgkmcnt(6)
	v_mul_f32_e32 v64, v117, v66
	v_fma_f32 v61, v42, v20, -v14
	v_fmac_f32_e32 v21, v76, v20
	v_fma_f32 v42, v49, v22, -v15
	v_fmac_f32_e32 v23, v102, v22
	;; [unrolled: 2-line block ×3, first 2 shown]
	ds_load_2addr_b32 v[64:65], v56 offset0:148 offset1:203
	v_fma_f32 v40, v40, v63, -v118
	v_dual_fmac_f32 v25, v105, v63 :: v_dual_lshlrev_b32 v24, 2, v24
	ds_load_2addr_b32 v[14:15], v0 offset0:110 offset1:165
	v_add_f32_e32 v102, v61, v49
	s_waitcnt vmcnt(7) lgkmcnt(6)
	v_mul_f32_e32 v20, v8, v68
	v_mul_f32_e32 v62, v28, v68
	s_waitcnt lgkmcnt(5)
	v_mul_f32_e32 v22, v106, v70
	v_mul_f32_e32 v68, v47, v70
	s_waitcnt vmcnt(6) lgkmcnt(4)
	v_mul_f32_e32 v70, v108, v74
	v_fma_f32 v63, v28, v67, -v20
	v_mul_f32_e32 v28, v103, v72
	v_fma_f32 v47, v47, v69, -v22
	v_fmac_f32_e32 v68, v106, v69
	v_dual_mul_f32 v69, v50, v72 :: v_dual_fmac_f32 v62, v8, v67
	ds_load_2addr_b32 v[66:67], v57 offset0:186 offset1:241
	v_lshlrev_b32_e32 v8, 2, v19
	v_fma_f32 v50, v50, v71, -v28
	v_mul_f32_e32 v28, v35, v74
	v_fmac_f32_e32 v69, v103, v71
	v_add_f32_e32 v71, v42, v40
	v_lshlrev_b32_e32 v19, 2, v116
	v_fma_f32 v35, v35, v73, -v70
	v_fmac_f32_e32 v28, v108, v73
	v_dual_add_f32 v72, v27, v61 :: v_dual_sub_f32 v73, v21, v26
	v_fma_f32 v71, -0.5, v71, v27
	s_waitcnt vmcnt(5)
	v_dual_fmac_f32 v27, -0.5, v102 :: v_dual_mul_f32 v70, v107, v81
	v_dual_mul_f32 v76, v48, v81 :: v_dual_sub_f32 v81, v61, v42
	v_add_f32_e32 v72, v72, v42
	v_dual_add_f32 v103, v23, v25 :: v_dual_lshlrev_b32 v22, 2, v114
	s_delay_alu instid0(VALU_DEP_4) | instskip(NEXT) | instid1(VALU_DEP_4)
	v_fma_f32 v48, v48, v80, -v70
	v_fmac_f32_e32 v76, v107, v80
	v_sub_f32_e32 v80, v49, v40
	s_waitcnt lgkmcnt(4)
	v_mul_f32_e32 v70, v110, v79
	v_mul_f32_e32 v79, v45, v79
	v_lshlrev_b32_e32 v20, 2, v115
	v_add3_u32 v8, 0, v9, v8
	v_add_f32_e32 v80, v81, v80
	s_waitcnt vmcnt(0) lgkmcnt(0)
	v_fmac_f32_e32 v79, v110, v78
	s_barrier
	buffer_gl0_inv
	v_mul_f32_e32 v105, v111, v83
	v_mul_f32_e32 v81, v46, v83
	;; [unrolled: 1-line block ×4, first 2 shown]
	v_sub_f32_e32 v74, v23, v25
	v_fma_f32 v45, v45, v78, -v70
	v_sub_f32_e32 v70, v42, v61
	v_fma_f32 v46, v46, v82, -v105
	v_dual_fmac_f32 v85, v64, v84 :: v_dual_mul_f32 v64, v33, v89
	v_dual_mul_f32 v102, v113, v87 :: v_dual_fmac_f32 v81, v111, v82
	v_dual_mul_f32 v82, v44, v87 :: v_dual_mul_f32 v87, v66, v89
	v_fma_f32 v37, v37, v84, -v83
	v_fmamk_f32 v83, v73, 0x3f737871, v71
	v_dual_fmac_f32 v71, 0xbf737871, v73 :: v_dual_mul_f32 v84, v112, v91
	v_dual_mul_f32 v89, v43, v91 :: v_dual_fmac_f32 v64, v66, v88
	v_mul_f32_e32 v66, v109, v93
	v_sub_f32_e32 v78, v40, v49
	v_fma_f32 v33, v33, v88, -v87
	v_mul_f32_e32 v87, v75, v95
	v_dual_mul_f32 v88, v41, v95 :: v_dual_mul_f32 v91, v38, v97
	v_fmac_f32_e32 v89, v112, v90
	v_fma_f32 v44, v44, v86, -v102
	v_dual_mul_f32 v95, v34, v101 :: v_dual_fmac_f32 v82, v113, v86
	s_delay_alu instid0(VALU_DEP_4)
	v_dual_mul_f32 v86, v36, v93 :: v_dual_fmac_f32 v91, v65, v96
	v_fma_f32 v36, v36, v92, -v66
	v_dual_mul_f32 v66, v67, v101 :: v_dual_fmac_f32 v71, 0xbf167918, v74
	v_fma_f32 v43, v43, v90, -v84
	v_mul_f32_e32 v84, v65, v97
	v_mul_f32_e32 v90, v104, v99
	;; [unrolled: 1-line block ×3, first 2 shown]
	v_sub_f32_e32 v99, v62, v68
	v_fma_f32 v41, v41, v94, -v87
	v_fmac_f32_e32 v95, v67, v100
	v_add_f32_e32 v65, v29, v63
	v_fma_f32 v34, v34, v100, -v66
	v_sub_f32_e32 v87, v35, v50
	v_fma_f32 v38, v38, v96, -v84
	v_dual_sub_f32 v84, v63, v47 :: v_dual_sub_f32 v101, v68, v62
	v_dual_sub_f32 v100, v28, v69 :: v_dual_fmac_f32 v71, 0x3e9e377a, v80
	v_dual_add_f32 v72, v72, v40 :: v_dual_fmac_f32 v83, 0x3f167918, v74
	v_dual_fmac_f32 v86, v109, v92 :: v_dual_add_f32 v97, v68, v69
	v_dual_fmac_f32 v88, v75, v94 :: v_dual_add_f32 v105, v37, v44
	v_fma_f32 v39, v39, v98, -v90
	v_fmac_f32_e32 v93, v104, v98
	v_dual_add_f32 v66, v47, v50 :: v_dual_sub_f32 v107, v46, v37
	v_dual_add_f32 v90, v63, v35 :: v_dual_sub_f32 v109, v37, v46
	v_dual_sub_f32 v92, v47, v63 :: v_dual_add_f32 v111, v14, v81
	v_dual_sub_f32 v94, v50, v35 :: v_dual_sub_f32 v113, v37, v44
	v_dual_add_f32 v96, v5, v62 :: v_dual_sub_f32 v117, v82, v64
	v_dual_sub_f32 v98, v47, v50 :: v_dual_fmac_f32 v83, 0x3e9e377a, v80
	v_dual_sub_f32 v102, v69, v28 :: v_dual_sub_f32 v115, v64, v82
	v_dual_add_f32 v104, v31, v46 :: v_dual_add_f32 v47, v65, v47
	v_dual_sub_f32 v106, v85, v82 :: v_dual_add_f32 v65, v84, v87
	v_sub_f32_e32 v108, v33, v44
	s_delay_alu instid0(VALU_DEP_4)
	v_dual_sub_f32 v110, v44, v33 :: v_dual_add_f32 v87, v101, v102
	v_sub_f32_e32 v116, v85, v81
	v_dual_add_f32 v84, v99, v100 :: v_dual_add_f32 v37, v104, v37
	v_dual_sub_f32 v99, v36, v43 :: v_dual_sub_f32 v114, v81, v85
	v_add_f32_e32 v107, v107, v108
	v_dual_sub_f32 v75, v68, v69 :: v_dual_add_f32 v112, v85, v82
	v_sub_f32_e32 v101, v48, v45
	v_dual_add_f32 v80, v92, v94 :: v_dual_add_f32 v85, v111, v85
	v_dual_add_f32 v68, v96, v68 :: v_dual_add_f32 v109, v109, v110
	v_add_f32_e32 v92, v30, v45
	v_dual_add_f32 v94, v48, v43 :: v_dual_sub_f32 v111, v86, v89
	v_dual_sub_f32 v96, v45, v48 :: v_dual_add_f32 v47, v47, v50
	v_sub_f32_e32 v110, v79, v76
	v_dual_add_f32 v114, v114, v115 :: v_dual_add_f32 v115, v79, v86
	v_dual_add_f32 v116, v116, v117 :: v_dual_add_f32 v37, v37, v44
	v_dual_sub_f32 v117, v76, v79 :: v_dual_sub_f32 v50, v89, v86
	v_sub_f32_e32 v67, v62, v28
	v_add_f32_e32 v100, v45, v36
	v_sub_f32_e32 v102, v43, v36
	v_add_f32_e32 v108, v76, v89
	v_dual_add_f32 v82, v85, v82 :: v_dual_sub_f32 v85, v88, v91
	v_dual_add_f32 v110, v110, v111 :: v_dual_add_f32 v111, v41, v34
	v_dual_add_f32 v50, v117, v50 :: v_dual_sub_f32 v63, v63, v35
	v_dual_sub_f32 v117, v39, v34 :: v_dual_add_f32 v96, v96, v99
	v_add_f32_e32 v99, v38, v39
	v_fma_f32 v97, -0.5, v97, v5
	v_add_f32_e32 v62, v62, v28
	v_dual_add_f32 v104, v6, v79 :: v_dual_add_f32 v101, v101, v102
	v_add_f32_e32 v68, v68, v69
	v_add_f32_e32 v69, v32, v41
	v_fma_f32 v94, -0.5, v94, v30
	v_fmac_f32_e32 v30, -0.5, v100
	v_fma_f32 v108, -0.5, v108, v6
	v_dual_fmac_f32 v6, -0.5, v115 :: v_dual_sub_f32 v115, v38, v41
	v_add_f32_e32 v44, v91, v93
	v_fma_f32 v99, -0.5, v99, v32
	v_fma_f32 v66, -0.5, v66, v29
	;; [unrolled: 1-line block ×3, first 2 shown]
	v_sub_f32_e32 v102, v34, v39
	v_fma_f32 v5, -0.5, v62, v5
	v_fmac_f32_e32 v32, -0.5, v111
	v_dual_add_f32 v111, v88, v95 :: v_dual_sub_f32 v100, v41, v38
	v_add_f32_e32 v115, v115, v117
	v_add_f32_e32 v117, v15, v88
	v_fma_f32 v44, -0.5, v44, v15
	s_delay_alu instid0(VALU_DEP_4) | instskip(SKIP_4) | instid1(VALU_DEP_3)
	v_fmac_f32_e32 v15, -0.5, v111
	v_add_f32_e32 v35, v47, v35
	v_dual_fmamk_f32 v47, v75, 0xbf737871, v29 :: v_dual_add_f32 v100, v100, v102
	v_dual_fmac_f32 v29, 0x3f737871, v75 :: v_dual_sub_f32 v102, v95, v93
	v_sub_f32_e32 v111, v93, v95
	v_fmac_f32_e32 v47, 0x3f167918, v67
	v_dual_fmamk_f32 v62, v63, 0xbf737871, v97 :: v_dual_sub_f32 v45, v45, v36
	s_delay_alu instid0(VALU_DEP_4) | instskip(SKIP_2) | instid1(VALU_DEP_4)
	v_dual_add_f32 v85, v85, v102 :: v_dual_sub_f32 v102, v91, v88
	v_fmac_f32_e32 v29, 0xbf167918, v67
	v_fmac_f32_e32 v97, 0x3f737871, v63
	;; [unrolled: 1-line block ×3, first 2 shown]
	s_delay_alu instid0(VALU_DEP_4)
	v_dual_add_f32 v69, v69, v38 :: v_dual_add_f32 v90, v102, v111
	v_fmamk_f32 v102, v67, 0x3f737871, v66
	v_fmac_f32_e32 v66, 0xbf737871, v67
	v_fmamk_f32 v67, v98, 0x3f737871, v5
	v_dual_fmac_f32 v5, 0xbf737871, v98 :: v_dual_add_f32 v72, v72, v49
	v_dual_add_f32 v28, v68, v28 :: v_dual_fmac_f32 v97, 0x3f167918, v98
	s_delay_alu instid0(VALU_DEP_3) | instskip(NEXT) | instid1(VALU_DEP_3)
	v_fmac_f32_e32 v67, 0xbf167918, v63
	v_fmac_f32_e32 v5, 0x3f167918, v63
	v_dual_add_f32 v63, v46, v33 :: v_dual_fmac_f32 v102, 0x3f167918, v75
	v_add_f32_e32 v98, v104, v76
	v_add_f32_e32 v92, v92, v48
	v_fma_f32 v104, -0.5, v105, v31
	s_delay_alu instid0(VALU_DEP_4)
	v_fma_f32 v31, -0.5, v63, v31
	v_sub_f32_e32 v76, v76, v89
	v_dual_add_f32 v89, v98, v89 :: v_dual_sub_f32 v68, v81, v64
	v_dual_add_f32 v81, v81, v64 :: v_dual_sub_f32 v46, v46, v33
	v_dual_sub_f32 v41, v41, v34 :: v_dual_sub_f32 v48, v48, v43
	v_add_f32_e32 v33, v37, v33
	v_fma_f32 v63, -0.5, v112, v14
	s_delay_alu instid0(VALU_DEP_4)
	v_fma_f32 v105, -0.5, v81, v14
	v_sub_f32_e32 v14, v88, v95
	v_add_f32_e32 v81, v117, v91
	v_add_f32_e32 v43, v92, v43
	v_dual_fmamk_f32 v37, v46, 0xbf737871, v63 :: v_dual_sub_f32 v88, v91, v93
	v_fmamk_f32 v91, v68, 0x3f737871, v104
	v_fmac_f32_e32 v104, 0xbf737871, v68
	v_dual_fmac_f32 v66, 0xbf167918, v75 :: v_dual_sub_f32 v79, v79, v86
	v_dual_sub_f32 v38, v38, v39 :: v_dual_fmac_f32 v63, 0x3f737871, v46
	v_dual_fmamk_f32 v92, v106, 0xbf737871, v31 :: v_dual_add_f32 v39, v69, v39
	v_fmac_f32_e32 v31, 0x3f737871, v106
	v_fmac_f32_e32 v91, 0x3f167918, v106
	v_fmamk_f32 v98, v113, 0x3f737871, v105
	v_fmac_f32_e32 v105, 0xbf737871, v113
	s_delay_alu instid0(VALU_DEP_4)
	v_dual_fmac_f32 v104, 0xbf167918, v106 :: v_dual_fmac_f32 v31, 0xbf167918, v68
	v_dual_add_f32 v64, v82, v64 :: v_dual_fmac_f32 v37, 0xbf167918, v113
	v_dual_fmamk_f32 v82, v76, 0xbf737871, v30 :: v_dual_add_f32 v81, v81, v93
	v_fmamk_f32 v106, v45, 0xbf737871, v108
	v_fmac_f32_e32 v108, 0x3f737871, v45
	v_dual_fmamk_f32 v93, v88, 0xbf737871, v32 :: v_dual_add_f32 v34, v39, v34
	v_fmac_f32_e32 v32, 0x3f737871, v88
	v_fmamk_f32 v75, v74, 0xbf737871, v27
	v_fmac_f32_e32 v27, 0x3f737871, v74
	v_fmac_f32_e32 v92, 0x3f167918, v68
	v_dual_fmamk_f32 v68, v79, 0x3f737871, v94 :: v_dual_fmamk_f32 v69, v14, 0x3f737871, v99
	v_dual_fmac_f32 v94, 0xbf737871, v79 :: v_dual_fmac_f32 v99, 0xbf737871, v14
	v_dual_fmac_f32 v63, 0x3f167918, v113 :: v_dual_add_f32 v36, v43, v36
	v_dual_fmac_f32 v102, 0x3e9e377a, v65 :: v_dual_fmac_f32 v47, 0x3e9e377a, v80
	v_dual_fmac_f32 v66, 0x3e9e377a, v65 :: v_dual_fmac_f32 v29, 0x3e9e377a, v80
	v_fmamk_f32 v65, v41, 0xbf737871, v44
	v_dual_add_f32 v43, v89, v86 :: v_dual_fmac_f32 v108, 0x3f167918, v48
	v_fmac_f32_e32 v93, 0x3f167918, v14
	v_dual_fmac_f32 v32, 0xbf167918, v14 :: v_dual_fmac_f32 v27, 0xbf167918, v73
	v_add_f32_e32 v14, v7, v21
	v_dual_fmac_f32 v30, 0x3f737871, v76 :: v_dual_fmamk_f32 v111, v38, 0x3f737871, v15
	v_dual_fmac_f32 v98, 0xbf167918, v46 :: v_dual_fmac_f32 v99, 0xbf167918, v88
	v_dual_fmac_f32 v105, 0x3f167918, v46 :: v_dual_fmac_f32 v68, 0x3f167918, v76
	v_dual_fmamk_f32 v46, v48, 0x3f737871, v6 :: v_dual_add_f32 v39, v81, v95
	v_fmac_f32_e32 v6, 0xbf737871, v48
	v_fmac_f32_e32 v44, 0x3f737871, v41
	;; [unrolled: 1-line block ×3, first 2 shown]
	v_dual_fmac_f32 v75, 0x3f167918, v73 :: v_dual_add_f32 v14, v14, v23
	v_dual_fmac_f32 v30, 0xbf167918, v79 :: v_dual_fmac_f32 v111, 0xbf167918, v41
	s_delay_alu instid0(VALU_DEP_3)
	v_dual_fmac_f32 v44, 0x3f167918, v38 :: v_dual_fmac_f32 v15, 0x3f167918, v41
	v_sub_f32_e32 v41, v61, v49
	v_fmac_f32_e32 v6, 0x3f167918, v45
	v_add_f32_e32 v14, v14, v25
	v_dual_fmac_f32 v46, 0xbf167918, v45 :: v_dual_add_f32 v45, v70, v78
	v_dual_fmac_f32 v94, 0xbf167918, v76 :: v_dual_fmac_f32 v65, 0xbf167918, v38
	s_delay_alu instid0(VALU_DEP_4) | instskip(NEXT) | instid1(VALU_DEP_3)
	v_fmac_f32_e32 v6, 0x3e9e377a, v50
	v_dual_sub_f32 v40, v42, v40 :: v_dual_fmac_f32 v75, 0x3e9e377a, v45
	v_dual_sub_f32 v42, v21, v23 :: v_dual_fmac_f32 v27, 0x3e9e377a, v45
	v_add_f32_e32 v45, v14, v26
	v_dual_fmac_f32 v46, 0x3e9e377a, v50 :: v_dual_fmac_f32 v93, 0x3e9e377a, v115
	v_add_f32_e32 v50, v21, v26
	v_dual_sub_f32 v14, v23, v21 :: v_dual_sub_f32 v21, v25, v26
	v_fma_f32 v38, -0.5, v103, v7
	v_dual_fmac_f32 v106, 0xbf167918, v48 :: v_dual_sub_f32 v49, v26, v25
	s_delay_alu instid0(VALU_DEP_3)
	v_dual_fmac_f32 v7, -0.5, v50 :: v_dual_add_f32 v14, v14, v21
	v_add3_u32 v21, 0, v10, v24
	v_mul_u32_u24_e32 v10, 0xdc, v11
	v_and_b32_e32 v11, 0xffff, v12
	v_fmamk_f32 v48, v41, 0xbf737871, v38
	v_fmamk_f32 v61, v40, 0x3f737871, v7
	v_fmac_f32_e32 v7, 0xbf737871, v40
	v_add3_u32 v22, 0, v10, v22
	v_and_b32_e32 v10, 0xffff, v13
	v_dual_fmac_f32 v82, 0x3f167918, v79 :: v_dual_fmac_f32 v69, 0x3f167918, v88
	v_mul_u32_u24_e32 v11, 0xdc, v11
	v_dual_fmac_f32 v48, 0xbf167918, v40 :: v_dual_fmac_f32 v61, 0xbf167918, v41
	s_delay_alu instid0(VALU_DEP_4)
	v_mul_u32_u24_e32 v10, 0xdc, v10
	v_add_f32_e32 v42, v42, v49
	v_dual_fmac_f32 v62, 0x3e9e377a, v84 :: v_dual_fmac_f32 v67, 0x3e9e377a, v87
	v_dual_fmac_f32 v97, 0x3e9e377a, v84 :: v_dual_fmac_f32 v104, 0x3e9e377a, v107
	;; [unrolled: 1-line block ×8, first 2 shown]
	v_fmac_f32_e32 v7, 0x3f167918, v41
	v_add3_u32 v20, 0, v11, v20
	v_add3_u32 v19, 0, v10, v19
	v_dual_fmac_f32 v5, 0x3e9e377a, v87 :: v_dual_fmac_f32 v92, 0x3e9e377a, v109
	v_dual_fmac_f32 v31, 0x3e9e377a, v109 :: v_dual_fmac_f32 v68, 0x3e9e377a, v96
	;; [unrolled: 1-line block ×3, first 2 shown]
	v_fmac_f32_e32 v61, 0x3e9e377a, v14
	v_fmac_f32_e32 v48, 0x3e9e377a, v42
	v_dual_fmac_f32 v108, 0x3e9e377a, v110 :: v_dual_fmac_f32 v99, 0x3e9e377a, v100
	v_fmac_f32_e32 v65, 0x3e9e377a, v85
	v_fmac_f32_e32 v7, 0x3e9e377a, v14
	ds_store_2addr_b32 v21, v35, v102 offset1:11
	ds_store_2addr_b32 v21, v47, v29 offset0:22 offset1:33
	ds_store_b32 v21, v66 offset:176
	ds_store_2addr_b32 v22, v36, v68 offset1:11
	ds_store_2addr_b32 v22, v82, v30 offset0:22 offset1:33
	ds_store_b32 v22, v94 offset:176
	;; [unrolled: 3-line block ×5, first 2 shown]
	s_waitcnt lgkmcnt(0)
	s_barrier
	buffer_gl0_inv
	ds_load_2addr_b32 v[11:12], v0 offset1:55
	ds_load_2addr_b32 v[9:10], v54 offset0:92 offset1:147
	ds_load_2addr_b32 v[49:50], v56 offset0:38 offset1:93
	ds_load_2addr_b32 v[69:70], v58 offset0:2 offset1:57
	ds_load_2addr_b32 v[71:72], v57 offset0:76 offset1:131
	ds_load_2addr_b32 v[73:74], v55 offset0:74 offset1:129
	ds_load_2addr_b32 v[75:76], v58 offset0:112 offset1:167
	ds_load_2addr_b32 v[13:14], v0 offset0:110 offset1:165
	ds_load_2addr_b32 v[78:79], v56 offset0:148 offset1:203
	ds_load_2addr_b32 v[80:81], v57 offset0:186 offset1:241
	ds_load_2addr_b32 v[82:83], v55 offset0:184 offset1:239
	ds_load_2addr_b32 v[84:85], v59 offset0:94 offset1:149
	ds_load_b32 v102, v0 offset:5280
	s_waitcnt lgkmcnt(0)
	s_barrier
	buffer_gl0_inv
	ds_store_2addr_b32 v21, v28, v62 offset1:11
	ds_store_2addr_b32 v21, v67, v5 offset0:22 offset1:33
	ds_store_b32 v21, v97 offset:176
	ds_store_2addr_b32 v22, v43, v106 offset1:11
	ds_store_2addr_b32 v22, v46, v6 offset0:22 offset1:33
	ds_store_b32 v22, v108 offset:176
	;; [unrolled: 3-line block ×3, first 2 shown]
	ds_store_2addr_b32 v19, v39, v65 offset1:11
	v_dual_mov_b32 v6, 0 :: v_dual_lshlrev_b32 v5, 2, v77
	ds_store_2addr_b32 v19, v111, v15 offset0:22 offset1:33
	ds_store_b32 v19, v44 offset:176
	ds_store_2addr_b32 v8, v45, v48 offset1:11
	v_mul_lo_u16 v15, 0x95, v18
	v_lshlrev_b64 v[18:19], 3, v[5:6]
	s_delay_alu instid0(VALU_DEP_2) | instskip(SKIP_2) | instid1(VALU_DEP_3)
	v_lshrrev_b16 v5, 13, v15
	v_mul_u32_u24_e32 v15, 0x29e5, v16
	v_mul_lo_u16 v16, 0x95, v17
	v_mul_lo_u16 v5, v5, 55
	s_delay_alu instid0(VALU_DEP_3) | instskip(NEXT) | instid1(VALU_DEP_3)
	v_lshrrev_b32_e32 v15, 16, v15
	v_lshrrev_b16 v16, 13, v16
	s_delay_alu instid0(VALU_DEP_3) | instskip(NEXT) | instid1(VALU_DEP_3)
	v_sub_nc_u16 v5, v51, v5
	v_sub_nc_u16 v17, v52, v15
	s_delay_alu instid0(VALU_DEP_3) | instskip(NEXT) | instid1(VALU_DEP_2)
	v_mul_lo_u16 v16, v16, 55
	v_lshrrev_b16 v17, 1, v17
	s_delay_alu instid0(VALU_DEP_2) | instskip(NEXT) | instid1(VALU_DEP_2)
	v_sub_nc_u16 v16, v60, v16
	v_add_nc_u16 v15, v17, v15
	s_delay_alu instid0(VALU_DEP_1) | instskip(NEXT) | instid1(VALU_DEP_3)
	v_lshrrev_b16 v17, 5, v15
	v_and_b32_e32 v15, 0xff, v16
	v_fmac_f32_e32 v38, 0x3f737871, v41
	s_delay_alu instid0(VALU_DEP_3) | instskip(NEXT) | instid1(VALU_DEP_2)
	v_mul_lo_u16 v16, v17, 55
	v_dual_fmac_f32 v38, 0x3f167918, v40 :: v_dual_lshlrev_b32 v17, 5, v15
	s_delay_alu instid0(VALU_DEP_2) | instskip(NEXT) | instid1(VALU_DEP_1)
	v_sub_nc_u16 v16, v52, v16
	v_and_b32_e32 v16, 0xffff, v16
	s_delay_alu instid0(VALU_DEP_3) | instskip(SKIP_3) | instid1(VALU_DEP_1)
	v_fmac_f32_e32 v38, 0x3e9e377a, v42
	ds_store_2addr_b32 v8, v61, v7 offset0:22 offset1:33
	ds_store_b32 v8, v38 offset:176
	v_add_co_u32 v7, s0, s8, v18
	v_add_co_ci_u32_e64 v8, s0, s9, v19, s0
	s_waitcnt lgkmcnt(0)
	s_barrier
	buffer_gl0_inv
	s_clause 0x1
	global_load_b128 v[25:28], v[7:8], off offset:352
	global_load_b128 v[29:32], v[7:8], off offset:368
	v_and_b32_e32 v5, 0xff, v5
	s_clause 0x1
	global_load_b128 v[41:44], v17, s[8:9] offset:352
	global_load_b128 v[45:48], v17, s[8:9] offset:368
	v_lshlrev_b32_e32 v18, 5, v5
	s_clause 0x1
	global_load_b128 v[33:36], v18, s[8:9] offset:352
	global_load_b128 v[37:40], v18, s[8:9] offset:368
	s_waitcnt vmcnt(5)
	v_mul_f32_e32 v113, v73, v26
	v_lshlrev_b32_e32 v17, 5, v16
	s_clause 0x1
	global_load_b128 v[61:64], v17, s[8:9] offset:352
	global_load_b128 v[65:68], v17, s[8:9] offset:368
	ds_load_2addr_b32 v[19:20], v54 offset0:92 offset1:147
	ds_load_2addr_b32 v[17:18], v56 offset0:38 offset1:93
	;; [unrolled: 1-line block ×6, first 2 shown]
	ds_load_2addr_b32 v[23:24], v0 offset1:55
	ds_load_2addr_b32 v[21:22], v0 offset0:110 offset1:165
	ds_load_2addr_b32 v[94:95], v56 offset0:148 offset1:203
	;; [unrolled: 1-line block ×5, first 2 shown]
	ds_load_b32 v103, v0 offset:5280
	v_mul_f32_e32 v105, v10, v26
	v_mul_f32_e32 v107, v49, v28
	s_waitcnt vmcnt(6)
	v_mul_f32_e32 v111, v71, v32
	v_mul_f32_e32 v109, v70, v30
	s_waitcnt vmcnt(0) lgkmcnt(0)
	s_barrier
	buffer_gl0_inv
	v_mul_f32_e32 v104, v20, v26
	v_dual_mul_f32 v106, v17, v28 :: v_dual_fmac_f32 v105, v20, v25
	v_dual_mul_f32 v108, v87, v30 :: v_dual_mul_f32 v115, v89, v32
	v_mul_f32_e32 v112, v90, v26
	v_mul_f32_e32 v26, v18, v28
	v_dual_mul_f32 v110, v88, v32 :: v_dual_fmac_f32 v107, v17, v27
	v_dual_mul_f32 v114, v50, v28 :: v_dual_fmac_f32 v111, v88, v31
	v_dual_mul_f32 v28, v92, v30 :: v_dual_mul_f32 v17, v94, v36
	v_dual_mul_f32 v30, v75, v30 :: v_dual_fmac_f32 v113, v90, v25
	v_mul_f32_e32 v32, v72, v32
	v_fma_f32 v104, v10, v25, -v104
	v_fma_f32 v73, v73, v25, -v112
	v_dual_mul_f32 v36, v78, v36 :: v_dual_mul_f32 v25, v93, v38
	v_fma_f32 v50, v50, v27, -v26
	v_mul_f32_e32 v26, v91, v34
	v_mul_f32_e32 v34, v74, v34
	v_fma_f32 v49, v49, v27, -v106
	v_dual_fmac_f32 v114, v18, v27 :: v_dual_fmac_f32 v109, v87, v29
	v_mul_f32_e32 v38, v76, v38
	v_mul_f32_e32 v27, v96, v40
	v_fma_f32 v71, v71, v31, -v110
	v_fmac_f32_e32 v32, v89, v31
	v_fma_f32 v70, v70, v29, -v108
	v_fma_f32 v75, v75, v29, -v28
	;; [unrolled: 1-line block ×3, first 2 shown]
	v_fmac_f32_e32 v36, v94, v35
	v_fma_f32 v72, v72, v31, -v115
	v_dual_mul_f32 v31, v82, v42 :: v_dual_mul_f32 v40, v80, v40
	v_mul_f32_e32 v28, v100, v46
	v_lshl_add_u32 v5, v5, 2, 0
	v_sub_f32_e32 v87, v73, v50
	s_delay_alu instid0(VALU_DEP_4)
	v_fmac_f32_e32 v31, v98, v41
	v_dual_add_f32 v89, v73, v72 :: v_dual_mul_f32 v26, v99, v62
	v_mul_f32_e32 v10, v83, v62
	v_fma_f32 v62, v78, v35, -v17
	v_mul_f32_e32 v18, v69, v64
	v_mul_f32_e32 v35, v101, v66
	v_dual_mul_f32 v17, v102, v68 :: v_dual_fmac_f32 v30, v92, v29
	v_mul_f32_e32 v29, v79, v44
	v_dual_fmac_f32 v34, v91, v33 :: v_dual_mul_f32 v33, v86, v64
	v_mul_f32_e32 v90, v98, v42
	v_mul_f32_e32 v42, v95, v44
	v_mul_f32_e32 v44, v84, v46
	v_mul_f32_e32 v20, v85, v66
	v_fma_f32 v66, v76, v37, -v25
	v_dual_fmac_f32 v38, v93, v37 :: v_dual_sub_f32 v91, v75, v72
	v_fma_f32 v37, v80, v39, -v27
	v_fma_f32 v25, v69, v63, -v33
	v_dual_fmac_f32 v18, v86, v63 :: v_dual_add_f32 v33, v11, v104
	v_add_f32_e32 v63, v104, v71
	v_fma_f32 v27, v83, v61, -v26
	v_fma_f32 v26, v85, v65, -v35
	v_add_f32_e32 v35, v49, v70
	v_mul_f32_e32 v46, v97, v48
	v_mul_f32_e32 v48, v81, v48
	v_dual_mul_f32 v64, v103, v68 :: v_dual_add_f32 v83, v12, v73
	v_dual_fmac_f32 v40, v96, v39 :: v_dual_sub_f32 v85, v113, v32
	v_fmac_f32_e32 v29, v95, v43
	v_fma_f32 v39, v82, v41, -v90
	v_fma_f32 v41, v79, v43, -v42
	;; [unrolled: 1-line block ×3, first 2 shown]
	v_dual_fmac_f32 v44, v100, v45 :: v_dual_fmac_f32 v17, v103, v67
	v_dual_sub_f32 v45, v105, v111 :: v_dual_sub_f32 v86, v114, v30
	v_add_f32_e32 v33, v33, v49
	v_fma_f32 v35, -0.5, v35, v11
	v_fma_f32 v43, v81, v47, -v46
	v_fma_f32 v28, v102, v67, -v64
	v_dual_sub_f32 v46, v107, v109 :: v_dual_sub_f32 v95, v113, v114
	v_dual_sub_f32 v64, v49, v104 :: v_dual_add_f32 v67, v23, v105
	v_dual_add_f32 v68, v107, v109 :: v_dual_sub_f32 v69, v104, v71
	v_fmac_f32_e32 v10, v99, v61
	v_dual_sub_f32 v61, v71, v70 :: v_dual_fmac_f32 v48, v97, v47
	v_add_f32_e32 v93, v114, v30
	v_dual_sub_f32 v47, v104, v49 :: v_dual_sub_f32 v76, v49, v70
	v_dual_sub_f32 v78, v105, v107 :: v_dual_sub_f32 v103, v36, v38
	v_sub_f32_e32 v79, v111, v109
	v_sub_f32_e32 v81, v107, v105
	v_dual_fmac_f32 v20, v101, v65 :: v_dual_sub_f32 v99, v30, v32
	v_dual_sub_f32 v65, v70, v71 :: v_dual_sub_f32 v96, v32, v30
	v_dual_sub_f32 v98, v114, v113 :: v_dual_add_f32 v33, v33, v70
	v_dual_add_f32 v101, v62, v66 :: v_dual_add_f32 v80, v105, v111
	s_delay_alu instid0(VALU_DEP_3)
	v_dual_add_f32 v49, v64, v65 :: v_dual_fmamk_f32 v70, v45, 0x3f737871, v35
	v_fmac_f32_e32 v35, 0xbf737871, v45
	v_add_f32_e32 v92, v24, v113
	v_sub_f32_e32 v82, v109, v111
	v_dual_add_f32 v84, v50, v75 :: v_dual_sub_f32 v105, v37, v66
	v_add_f32_e32 v97, v113, v32
	v_fma_f32 v11, -0.5, v63, v11
	v_add_f32_e32 v100, v13, v74
	v_fma_f32 v63, -0.5, v68, v23
	;; [unrolled: 2-line block ×3, first 2 shown]
	v_add_f32_e32 v79, v92, v114
	v_dual_sub_f32 v88, v72, v75 :: v_dual_add_f32 v23, v81, v82
	v_sub_f32_e32 v90, v50, v73
	v_add_f32_e32 v47, v47, v61
	v_dual_add_f32 v61, v67, v107 :: v_dual_add_f32 v106, v74, v37
	v_fma_f32 v67, -0.5, v84, v12
	v_dual_add_f32 v68, v87, v88 :: v_dual_fmamk_f32 v87, v46, 0xbf737871, v11
	v_sub_f32_e32 v94, v50, v75
	v_add_f32_e32 v50, v83, v50
	v_dual_add_f32 v83, v100, v62 :: v_dual_fmac_f32 v12, -0.5, v89
	v_fmamk_f32 v89, v76, 0x3f737871, v65
	v_fmac_f32_e32 v65, 0xbf737871, v76
	v_sub_f32_e32 v73, v73, v72
	s_delay_alu instid0(VALU_DEP_4)
	v_dual_add_f32 v83, v83, v66 :: v_dual_sub_f32 v102, v34, v40
	v_fmac_f32_e32 v11, 0x3f737871, v46
	v_dual_sub_f32 v104, v74, v62 :: v_dual_add_f32 v61, v61, v109
	v_fma_f32 v80, -0.5, v93, v24
	v_dual_fmac_f32 v24, -0.5, v97 :: v_dual_add_f32 v33, v33, v71
	v_dual_add_f32 v50, v50, v75 :: v_dual_fmac_f32 v35, 0xbf167918, v46
	v_dual_add_f32 v30, v79, v30 :: v_dual_fmac_f32 v87, 0x3f167918, v45
	v_fmac_f32_e32 v89, 0xbf167918, v69
	v_dual_fmac_f32 v65, 0x3f167918, v69 :: v_dual_add_f32 v78, v90, v91
	v_dual_add_f32 v81, v95, v96 :: v_dual_add_f32 v82, v98, v99
	v_fmamk_f32 v79, v73, 0xbf737871, v80
	v_fmamk_f32 v88, v69, 0xbf737871, v63
	v_fmac_f32_e32 v63, 0x3f737871, v69
	v_fmamk_f32 v75, v85, 0x3f737871, v67
	v_dual_fmac_f32 v67, 0xbf737871, v85 :: v_dual_fmamk_f32 v90, v86, 0xbf737871, v12
	v_fmamk_f32 v91, v94, 0x3f737871, v24
	s_delay_alu instid0(VALU_DEP_4)
	v_dual_fmac_f32 v70, 0x3f167918, v46 :: v_dual_fmac_f32 v63, 0x3f167918, v76
	v_add_f32_e32 v46, v50, v72
	v_dual_add_f32 v50, v30, v32 :: v_dual_fmac_f32 v89, 0x3e9e377a, v23
	v_fmac_f32_e32 v65, 0x3e9e377a, v23
	v_add_f32_e32 v23, v104, v105
	v_dual_fmac_f32 v11, 0xbf167918, v45 :: v_dual_fmac_f32 v88, 0xbf167918, v76
	v_fma_f32 v84, -0.5, v101, v13
	v_dual_fmac_f32 v12, 0x3f737871, v86 :: v_dual_add_f32 v45, v61, v111
	v_dual_fmac_f32 v75, 0x3f167918, v86 :: v_dual_fmac_f32 v90, 0x3f167918, v85
	v_dual_fmac_f32 v70, 0x3e9e377a, v47 :: v_dual_fmac_f32 v87, 0x3e9e377a, v49
	v_fmac_f32_e32 v11, 0x3e9e377a, v49
	s_delay_alu instid0(VALU_DEP_3) | instskip(SKIP_4) | instid1(VALU_DEP_4)
	v_dual_sub_f32 v49, v66, v37 :: v_dual_fmac_f32 v90, 0x3e9e377a, v78
	v_dual_fmac_f32 v67, 0xbf167918, v86 :: v_dual_fmac_f32 v12, 0xbf167918, v85
	v_fmac_f32_e32 v80, 0x3f737871, v73
	v_dual_fmamk_f32 v92, v102, 0x3f737871, v84 :: v_dual_add_f32 v61, v21, v34
	v_dual_fmac_f32 v35, 0x3e9e377a, v47 :: v_dual_fmac_f32 v88, 0x3e9e377a, v64
	v_dual_fmac_f32 v63, 0x3e9e377a, v64 :: v_dual_fmac_f32 v12, 0x3e9e377a, v78
	v_dual_fmac_f32 v67, 0x3e9e377a, v68 :: v_dual_add_f32 v64, v36, v38
	v_sub_f32_e32 v47, v62, v74
	v_fmac_f32_e32 v24, 0xbf737871, v94
	v_dual_fmac_f32 v79, 0xbf167918, v94 :: v_dual_add_f32 v30, v83, v37
	v_fmac_f32_e32 v80, 0x3f167918, v94
	v_dual_fmac_f32 v92, 0x3f167918, v103 :: v_dual_sub_f32 v37, v74, v37
	v_add_f32_e32 v47, v47, v49
	v_add_f32_e32 v49, v61, v36
	v_fma_f32 v61, -0.5, v64, v21
	v_fmac_f32_e32 v84, 0xbf737871, v102
	v_fmac_f32_e32 v91, 0xbf167918, v73
	v_fma_f32 v13, -0.5, v106, v13
	v_fmac_f32_e32 v24, 0x3f167918, v73
	v_dual_fmac_f32 v75, 0x3e9e377a, v68 :: v_dual_fmac_f32 v92, 0x3e9e377a, v23
	v_fmac_f32_e32 v84, 0xbf167918, v103
	v_dual_fmac_f32 v79, 0x3e9e377a, v81 :: v_dual_sub_f32 v62, v62, v66
	v_sub_f32_e32 v68, v40, v38
	v_add_f32_e32 v64, v34, v40
	s_delay_alu instid0(VALU_DEP_4)
	v_dual_fmac_f32 v84, 0x3e9e377a, v23 :: v_dual_add_f32 v23, v49, v38
	v_fmamk_f32 v49, v37, 0xbf737871, v61
	v_dual_fmac_f32 v61, 0x3f737871, v37 :: v_dual_sub_f32 v66, v34, v36
	v_fmamk_f32 v32, v103, 0xbf737871, v13
	v_fmac_f32_e32 v13, 0x3f737871, v103
	v_add_f32_e32 v69, v39, v43
	v_add_f32_e32 v71, v29, v44
	ds_store_2addr_b32 v54, v35, v46 offset0:92 offset1:147
	v_fmac_f32_e32 v32, 0x3f167918, v102
	v_fmac_f32_e32 v13, 0xbf167918, v102
	;; [unrolled: 1-line block ×3, first 2 shown]
	v_lshl_add_u32 v46, v16, 2, 0
	ds_store_2addr_b32 v55, v12, v67 offset0:184 offset1:239
	v_fmac_f32_e32 v32, 0x3e9e377a, v47
	v_fmac_f32_e32 v13, 0x3e9e377a, v47
	v_fma_f32 v47, -0.5, v64, v21
	v_dual_add_f32 v64, v23, v40 :: v_dual_fmac_f32 v49, 0xbf167918, v62
	v_add_f32_e32 v21, v66, v68
	s_delay_alu instid0(VALU_DEP_3) | instskip(SKIP_1) | instid1(VALU_DEP_3)
	v_dual_sub_f32 v23, v36, v34 :: v_dual_fmamk_f32 v66, v62, 0x3f737871, v47
	v_dual_sub_f32 v34, v38, v40 :: v_dual_fmac_f32 v61, 0x3f167918, v62
	v_dual_fmac_f32 v49, 0x3e9e377a, v21 :: v_dual_sub_f32 v38, v31, v48
	v_fmac_f32_e32 v47, 0xbf737871, v62
	s_delay_alu instid0(VALU_DEP_3) | instskip(SKIP_2) | instid1(VALU_DEP_4)
	v_dual_fmac_f32 v66, 0xbf167918, v37 :: v_dual_add_f32 v23, v23, v34
	v_add_f32_e32 v34, v14, v39
	v_dual_add_f32 v36, v41, v42 :: v_dual_fmac_f32 v61, 0x3e9e377a, v21
	v_dual_sub_f32 v40, v29, v44 :: v_dual_fmac_f32 v47, 0x3f167918, v37
	s_delay_alu instid0(VALU_DEP_3) | instskip(NEXT) | instid1(VALU_DEP_3)
	v_add_f32_e32 v21, v34, v41
	v_fma_f32 v36, -0.5, v36, v14
	v_fmac_f32_e32 v66, 0x3e9e377a, v23
	s_delay_alu instid0(VALU_DEP_4) | instskip(NEXT) | instid1(VALU_DEP_3)
	v_dual_sub_f32 v62, v39, v41 :: v_dual_fmac_f32 v47, 0x3e9e377a, v23
	v_dual_add_f32 v21, v21, v42 :: v_dual_fmamk_f32 v34, v38, 0x3f737871, v36
	v_sub_f32_e32 v68, v43, v42
	v_fmac_f32_e32 v14, -0.5, v69
	s_delay_alu instid0(VALU_DEP_3) | instskip(NEXT) | instid1(VALU_DEP_4)
	v_dual_fmac_f32 v36, 0xbf737871, v38 :: v_dual_add_f32 v21, v21, v43
	v_dual_fmac_f32 v34, 0x3f167918, v40 :: v_dual_add_f32 v69, v22, v31
	s_delay_alu instid0(VALU_DEP_4) | instskip(NEXT) | instid1(VALU_DEP_4)
	v_add_f32_e32 v37, v62, v68
	v_dual_fmamk_f32 v23, v40, 0xbf737871, v14 :: v_dual_sub_f32 v62, v41, v39
	v_sub_f32_e32 v68, v42, v43
	v_dual_fmac_f32 v36, 0xbf167918, v40 :: v_dual_sub_f32 v41, v41, v42
	s_delay_alu instid0(VALU_DEP_3) | instskip(SKIP_1) | instid1(VALU_DEP_4)
	v_fmac_f32_e32 v23, 0x3f167918, v38
	v_fmac_f32_e32 v14, 0x3f737871, v40
	v_add_f32_e32 v62, v62, v68
	v_add_f32_e32 v40, v69, v29
	v_dual_fmac_f32 v34, 0x3e9e377a, v37 :: v_dual_sub_f32 v39, v39, v43
	v_fma_f32 v68, -0.5, v71, v22
	v_dual_sub_f32 v42, v31, v29 :: v_dual_sub_f32 v43, v48, v44
	v_sub_f32_e32 v29, v29, v31
	v_dual_fmac_f32 v23, 0x3e9e377a, v62 :: v_dual_fmac_f32 v36, 0x3e9e377a, v37
	v_add_f32_e32 v37, v40, v44
	v_add_f32_e32 v40, v31, v48
	v_sub_f32_e32 v31, v44, v48
	v_add_nc_u32_e32 v69, 0x800, v5
	v_add_nc_u32_e32 v67, 0x1000, v46
	v_add_f32_e32 v37, v37, v48
	v_fmac_f32_e32 v22, -0.5, v40
	v_dual_add_f32 v40, v42, v43 :: v_dual_add_f32 v43, v25, v26
	v_fmac_f32_e32 v14, 0xbf167918, v38
	v_fmamk_f32 v38, v39, 0xbf737871, v68
	v_fmac_f32_e32 v68, 0x3f737871, v39
	v_add_f32_e32 v29, v29, v31
	s_delay_alu instid0(VALU_DEP_4)
	v_dual_add_f32 v31, v9, v27 :: v_dual_fmac_f32 v14, 0x3e9e377a, v62
	v_add_f32_e32 v62, v27, v28
	v_fmamk_f32 v42, v41, 0x3f737871, v22
	v_fmac_f32_e32 v68, 0x3f167918, v41
	v_fmac_f32_e32 v22, 0xbf737871, v41
	v_add_f32_e32 v31, v31, v25
	v_fmac_f32_e32 v38, 0xbf167918, v41
	v_fma_f32 v41, -0.5, v43, v9
	v_dual_sub_f32 v43, v10, v17 :: v_dual_fmac_f32 v68, 0x3e9e377a, v40
	v_fmac_f32_e32 v22, 0x3f167918, v39
	v_sub_f32_e32 v48, v28, v26
	v_dual_add_f32 v31, v31, v26 :: v_dual_fmac_f32 v38, 0x3e9e377a, v40
	v_dual_sub_f32 v40, v18, v20 :: v_dual_fmac_f32 v9, -0.5, v62
	v_fmac_f32_e32 v42, 0xbf167918, v39
	v_fmamk_f32 v39, v43, 0x3f737871, v41
	v_dual_sub_f32 v44, v27, v25 :: v_dual_fmac_f32 v41, 0xbf737871, v43
	ds_store_2addr_b32 v0, v33, v70 offset1:55
	ds_store_2addr_b32 v0, v87, v11 offset0:110 offset1:165
	ds_store_2addr_b32 v55, v75, v90 offset0:74 offset1:129
	v_add_f32_e32 v44, v44, v48
	v_fmac_f32_e32 v41, 0xbf167918, v40
	v_fmac_f32_e32 v42, 0x3e9e377a, v29
	v_dual_sub_f32 v48, v25, v27 :: v_dual_sub_f32 v27, v27, v28
	s_delay_alu instid0(VALU_DEP_3) | instskip(SKIP_4) | instid1(VALU_DEP_3)
	v_dual_fmac_f32 v22, 0x3e9e377a, v29 :: v_dual_fmac_f32 v41, 0x3e9e377a, v44
	v_add_f32_e32 v29, v31, v28
	v_fmamk_f32 v31, v40, 0xbf737871, v9
	v_dual_sub_f32 v25, v25, v26 :: v_dual_fmac_f32 v80, 0x3e9e377a, v81
	v_fmac_f32_e32 v24, 0x3e9e377a, v82
	v_fmac_f32_e32 v31, 0x3f167918, v43
	;; [unrolled: 1-line block ×4, first 2 shown]
	s_delay_alu instid0(VALU_DEP_2) | instskip(NEXT) | instid1(VALU_DEP_2)
	v_fmac_f32_e32 v39, 0x3e9e377a, v44
	v_dual_add_f32 v44, v18, v20 :: v_dual_fmac_f32 v9, 0xbf167918, v43
	s_delay_alu instid0(VALU_DEP_1) | instskip(NEXT) | instid1(VALU_DEP_1)
	v_fma_f32 v44, -0.5, v44, v19
	v_dual_sub_f32 v62, v26, v28 :: v_dual_fmamk_f32 v43, v27, 0xbf737871, v44
	s_delay_alu instid0(VALU_DEP_1)
	v_add_f32_e32 v28, v48, v62
	v_add_f32_e32 v40, v19, v10
	;; [unrolled: 1-line block ×3, first 2 shown]
	v_fmac_f32_e32 v44, 0x3f737871, v27
	v_fmac_f32_e32 v43, 0xbf167918, v25
	v_lshl_add_u32 v62, v15, 2, 0
	s_delay_alu instid0(VALU_DEP_4) | instskip(SKIP_2) | instid1(VALU_DEP_3)
	v_fmac_f32_e32 v19, -0.5, v48
	v_dual_fmac_f32 v31, 0x3e9e377a, v28 :: v_dual_add_f32 v40, v40, v18
	v_dual_fmac_f32 v9, 0x3e9e377a, v28 :: v_dual_sub_f32 v28, v10, v18
	v_fmamk_f32 v48, v25, 0x3f737871, v19
	v_sub_f32_e32 v10, v18, v10
	s_delay_alu instid0(VALU_DEP_4)
	v_add_f32_e32 v26, v40, v20
	v_sub_f32_e32 v40, v17, v20
	v_sub_f32_e32 v18, v20, v17
	v_fmac_f32_e32 v19, 0xbf737871, v25
	v_fmac_f32_e32 v44, 0x3f167918, v25
	;; [unrolled: 1-line block ×3, first 2 shown]
	v_add_f32_e32 v20, v28, v40
	s_delay_alu instid0(VALU_DEP_4) | instskip(SKIP_1) | instid1(VALU_DEP_3)
	v_dual_add_f32 v10, v10, v18 :: v_dual_fmac_f32 v19, 0x3f167918, v27
	v_add_nc_u32_e32 v70, 0xc00, v62
	v_dual_add_f32 v40, v26, v17 :: v_dual_fmac_f32 v43, 0x3e9e377a, v20
	v_fmac_f32_e32 v44, 0x3e9e377a, v20
	s_delay_alu instid0(VALU_DEP_4)
	v_fmac_f32_e32 v48, 0x3e9e377a, v10
	v_fmac_f32_e32 v19, 0x3e9e377a, v10
	ds_store_2addr_b32 v69, v30, v92 offset0:38 offset1:93
	ds_store_2addr_b32 v69, v32, v13 offset0:148 offset1:203
	;; [unrolled: 1-line block ×6, first 2 shown]
	ds_store_b32 v5, v84 offset:3080
	ds_store_b32 v62, v36 offset:4180
	;; [unrolled: 1-line block ×3, first 2 shown]
	s_waitcnt lgkmcnt(0)
	s_barrier
	buffer_gl0_inv
	ds_load_2addr_b32 v[9:10], v0 offset1:55
	ds_load_2addr_b32 v[29:30], v54 offset0:92 offset1:147
	ds_load_2addr_b32 v[17:18], v56 offset0:38 offset1:93
	;; [unrolled: 1-line block ×11, first 2 shown]
	ds_load_b32 v23, v0 offset:5280
	s_waitcnt lgkmcnt(0)
	s_barrier
	buffer_gl0_inv
	ds_store_2addr_b32 v0, v45, v88 offset1:55
	ds_store_2addr_b32 v0, v89, v65 offset0:110 offset1:165
	ds_store_2addr_b32 v54, v63, v50 offset0:92 offset1:147
	;; [unrolled: 1-line block ×10, first 2 shown]
	ds_store_b32 v5, v61 offset:3080
	ds_store_b32 v62, v68 offset:4180
	ds_store_b32 v46, v44 offset:5280
	s_waitcnt lgkmcnt(0)
	s_barrier
	buffer_gl0_inv
	s_and_saveexec_b32 s0, vcc_lo
	s_cbranch_execz .LBB0_21
; %bb.20:
	s_clause 0x1
	global_load_b128 v[37:40], v[7:8], off offset:2112
	global_load_b128 v[41:44], v[7:8], off offset:2128
	v_lshlrev_b32_e32 v5, 2, v52
	v_add_nc_u32_e32 v22, 0xc00, v0
	v_mul_lo_u32 v76, s2, v4
	v_mul_lo_u32 v19, s3, v3
	v_mad_u64_u32 v[84:85], null, s2, v3, 0
	v_lshlrev_b64 v[7:8], 3, v[5:6]
	v_lshlrev_b32_e32 v5, 2, v60
	s_delay_alu instid0(VALU_DEP_3) | instskip(NEXT) | instid1(VALU_DEP_3)
	v_add3_u32 v85, v85, v76, v19
	v_add_co_u32 v7, vcc_lo, s8, v7
	s_delay_alu instid0(VALU_DEP_4)
	v_add_co_ci_u32_e32 v8, vcc_lo, s9, v8, vcc_lo
	s_clause 0x1
	global_load_b128 v[45:48], v[7:8], off offset:2112
	global_load_b128 v[54:57], v[7:8], off offset:2128
	v_lshlrev_b64 v[7:8], 3, v[5:6]
	v_lshlrev_b32_e32 v5, 2, v51
	s_delay_alu instid0(VALU_DEP_2) | instskip(NEXT) | instid1(VALU_DEP_3)
	v_add_co_u32 v7, vcc_lo, s8, v7
	v_add_co_ci_u32_e32 v8, vcc_lo, s9, v8, vcc_lo
	s_clause 0x1
	global_load_b128 v[58:61], v[7:8], off offset:2112
	global_load_b128 v[62:65], v[7:8], off offset:2128
	s_waitcnt vmcnt(5)
	v_mul_f32_e32 v103, v17, v40
	s_waitcnt vmcnt(4)
	v_mul_f32_e32 v104, v13, v44
	v_lshlrev_b64 v[7:8], 3, v[5:6]
	v_lshlrev_b32_e32 v5, 2, v53
	v_add_nc_u32_e32 v24, 0x800, v0
	v_add_nc_u32_e32 v53, 0x1000, v0
	v_mul_f32_e32 v105, v36, v42
	v_add_co_u32 v7, vcc_lo, s8, v7
	v_add_co_ci_u32_e32 v8, vcc_lo, s9, v8, vcc_lo
	s_clause 0x1
	global_load_b128 v[49:52], v[7:8], off offset:2112
	global_load_b128 v[66:69], v[7:8], off offset:2128
	v_lshlrev_b64 v[7:8], 3, v[5:6]
	s_delay_alu instid0(VALU_DEP_1) | instskip(NEXT) | instid1(VALU_DEP_2)
	v_add_co_u32 v7, vcc_lo, s8, v7
	v_add_co_ci_u32_e32 v8, vcc_lo, s9, v8, vcc_lo
	s_clause 0x1
	global_load_b128 v[70:73], v[7:8], off offset:2128
	global_load_b128 v[78:81], v[7:8], off offset:2112
	v_add_nc_u32_e32 v7, 0x200, v0
	ds_load_2addr_b32 v[4:5], v22 offset0:2 offset1:57
	ds_load_2addr_b32 v[74:75], v24 offset0:38 offset1:93
	;; [unrolled: 1-line block ×4, first 2 shown]
	v_add_nc_u32_e32 v3, 0x400, v0
	s_waitcnt lgkmcnt(3)
	v_dual_fmac_f32 v105, v5, v41 :: v_dual_add_nc_u32 v92, 0xe00, v0
	s_waitcnt lgkmcnt(2)
	v_fmac_f32_e32 v103, v74, v39
	s_waitcnt lgkmcnt(0)
	v_fmac_f32_e32 v104, v82, v43
	ds_load_b32 v102, v0 offset:5280
	ds_load_2addr_b32 v[86:87], v0 offset0:110 offset1:165
	ds_load_2addr_b32 v[88:89], v0 offset1:55
	ds_load_2addr_b32 v[90:91], v3 offset0:184 offset1:239
	ds_load_2addr_b32 v[92:93], v92 offset0:94 offset1:149
	;; [unrolled: 1-line block ×6, first 2 shown]
	v_mul_f32_e32 v0, v30, v38
	v_dual_mul_f32 v3, v74, v40 :: v_dual_mul_f32 v22, v5, v42
	v_mul_f32_e32 v24, v8, v38
	v_mul_f32_e32 v38, v82, v44
	s_delay_alu instid0(VALU_DEP_4) | instskip(NEXT) | instid1(VALU_DEP_4)
	v_fmac_f32_e32 v0, v8, v37
	v_fma_f32 v5, v17, v39, -v3
	v_fma_f32 v74, v36, v41, -v22
	;; [unrolled: 1-line block ×4, first 2 shown]
	v_sub_f32_e32 v3, v0, v103
	v_sub_f32_e32 v8, v104, v105
	v_dual_add_f32 v22, v5, v74 :: v_dual_add_f32 v13, v103, v105
	v_dual_add_f32 v24, v0, v104 :: v_dual_sub_f32 v17, v82, v5
	s_delay_alu instid0(VALU_DEP_3)
	v_dual_add_f32 v110, v3, v8 :: v_dual_sub_f32 v19, v106, v74
	s_waitcnt vmcnt(7)
	v_dual_mul_f32 v8, v4, v48 :: v_dual_sub_f32 v107, v82, v106
	v_dual_sub_f32 v108, v0, v104 :: v_dual_sub_f32 v109, v103, v105
	s_waitcnt lgkmcnt(6)
	v_fma_f32 v37, -0.5, v13, v88
	v_add_f32_e32 v111, v17, v19
	v_fma_f32 v36, -0.5, v22, v9
	v_fma_f32 v30, -0.5, v24, v88
	s_waitcnt lgkmcnt(5)
	v_mul_f32_e32 v24, v91, v46
	s_waitcnt vmcnt(6)
	v_dual_mul_f32 v3, v32, v46 :: v_dual_mul_f32 v40, v102, v57
	v_dual_mul_f32 v13, v35, v48 :: v_dual_fmamk_f32 v38, v108, 0xbf737871, v36
	v_mul_f32_e32 v19, v23, v57
	v_mul_f32_e32 v17, v34, v55
	s_waitcnt lgkmcnt(4)
	v_mul_f32_e32 v22, v93, v55
	v_fmac_f32_e32 v13, v4, v47
	v_fma_f32 v35, v35, v47, -v8
	v_fma_f32 v4, v32, v45, -v24
	v_fma_f32 v32, v23, v56, -v40
	s_waitcnt vmcnt(4)
	v_mul_f32_e32 v40, v26, v65
	v_fma_f32 v22, v34, v54, -v22
	v_fmac_f32_e32 v3, v91, v45
	v_dual_mul_f32 v34, v28, v61 :: v_dual_fmac_f32 v17, v93, v54
	v_fmac_f32_e32 v38, 0xbf167918, v109
	v_mul_f32_e32 v8, v90, v59
	s_waitcnt lgkmcnt(3)
	v_dual_fmac_f32 v19, v102, v56 :: v_dual_mul_f32 v42, v95, v61
	v_dual_mul_f32 v43, v92, v63 :: v_dual_sub_f32 v46, v35, v22
	v_dual_sub_f32 v76, v5, v74 :: v_dual_fmamk_f32 v39, v107, 0x3f737871, v37
	s_waitcnt lgkmcnt(2)
	v_dual_mul_f32 v24, v97, v65 :: v_dual_mul_f32 v23, v31, v59
	v_add_f32_e32 v48, v13, v17
	v_dual_sub_f32 v45, v19, v17 :: v_dual_fmac_f32 v40, v97, v64
	v_dual_sub_f32 v54, v32, v22 :: v_dual_mul_f32 v41, v33, v63
	v_sub_f32_e32 v44, v3, v13
	v_fma_f32 v33, v33, v62, -v43
	v_add_f32_e32 v43, v35, v22
	v_fmac_f32_e32 v39, 0x3f167918, v76
	v_sub_f32_e32 v47, v4, v32
	v_dual_fmac_f32 v41, v92, v62 :: v_dual_sub_f32 v62, v22, v32
	v_sub_f32_e32 v53, v4, v35
	v_sub_f32_e32 v55, v3, v19
	v_fma_f32 v56, v26, v64, -v24
	v_dual_sub_f32 v57, v13, v17 :: v_dual_fmac_f32 v34, v95, v60
	v_sub_f32_e32 v24, v13, v3
	v_sub_f32_e32 v26, v17, v19
	v_add_f32_e32 v59, v3, v19
	v_fmac_f32_e32 v23, v90, v58
	v_sub_f32_e32 v61, v35, v4
	v_fma_f32 v31, v31, v58, -v8
	v_dual_add_f32 v58, v4, v32 :: v_dual_add_f32 v63, v3, v7
	v_add_f32_e32 v44, v44, v45
	v_add_f32_e32 v64, v29, v4
	v_fma_f32 v28, v28, v60, -v42
	v_fma_f32 v3, -0.5, v43, v29
	v_add_f32_e32 v53, v53, v54
	v_fma_f32 v4, -0.5, v48, v7
	v_add_f32_e32 v13, v13, v63
	v_fmac_f32_e32 v37, 0xbf737871, v107
	v_dual_fmac_f32 v39, 0x3e9e377a, v110 :: v_dual_add_f32 v54, v34, v41
	v_add_f32_e32 v48, v24, v26
	v_add_f32_e32 v26, v64, v35
	v_sub_f32_e32 v92, v28, v31
	v_sub_f32_e32 v35, v40, v41
	v_fmac_f32_e32 v37, 0xbf167918, v76
	v_fmac_f32_e32 v38, 0x3e9e377a, v111
	;; [unrolled: 1-line block ×3, first 2 shown]
	s_delay_alu instid0(VALU_DEP_3) | instskip(NEXT) | instid1(VALU_DEP_2)
	v_fmac_f32_e32 v37, 0x3e9e377a, v110
	v_fmac_f32_e32 v36, 0x3f167918, v109
	s_delay_alu instid0(VALU_DEP_1)
	v_fmac_f32_e32 v36, 0x3e9e377a, v111
	s_waitcnt vmcnt(3)
	v_mul_f32_e32 v42, v21, v50
	s_waitcnt vmcnt(2)
	v_dual_mul_f32 v60, v27, v52 :: v_dual_mul_f32 v65, v25, v69
	v_mul_f32_e32 v90, v16, v67
	s_waitcnt lgkmcnt(0)
	v_dual_mul_f32 v52, v94, v52 :: v_dual_mul_f32 v45, v101, v67
	v_dual_mul_f32 v24, v96, v69 :: v_dual_mul_f32 v43, v99, v50
	v_fma_f32 v8, -0.5, v59, v7
	v_add_f32_e32 v50, v61, v62
	v_fma_f32 v7, -0.5, v58, v29
	v_dual_sub_f32 v58, v31, v56 :: v_dual_sub_f32 v59, v28, v33
	v_dual_fmac_f32 v60, v94, v51 :: v_dual_sub_f32 v61, v31, v28
	v_dual_add_f32 v63, v28, v33 :: v_dual_sub_f32 v64, v23, v40
	v_fma_f32 v27, v27, v51, -v52
	v_dual_sub_f32 v51, v34, v41 :: v_dual_add_f32 v52, v23, v87
	v_fmac_f32_e32 v42, v99, v49
	v_fma_f32 v43, v21, v49, -v43
	v_add_f32_e32 v49, v12, v31
	v_dual_sub_f32 v67, v34, v23 :: v_dual_fmac_f32 v90, v101, v66
	v_add_f32_e32 v91, v23, v40
	s_waitcnt vmcnt(1)
	v_dual_fmac_f32 v65, v96, v68 :: v_dual_mul_f32 v94, v15, v71
	v_sub_f32_e32 v93, v33, v56
	v_add_f32_e32 v31, v31, v56
	v_fma_f32 v45, v16, v66, -v45
	s_waitcnt vmcnt(0)
	v_dual_mul_f32 v95, v18, v81 :: v_dual_fmamk_f32 v16, v55, 0xbf737871, v3
	v_dual_sub_f32 v29, v23, v34 :: v_dual_sub_f32 v62, v56, v33
	v_sub_f32_e32 v69, v41, v40
	v_fma_f32 v66, v25, v68, -v24
	v_mul_f32_e32 v68, v14, v73
	v_mul_f32_e32 v96, v20, v79
	v_dual_mul_f32 v79, v98, v79 :: v_dual_add_f32 v28, v49, v28
	v_dual_mul_f32 v81, v75, v81 :: v_dual_add_f32 v34, v34, v52
	v_mul_f32_e32 v71, v100, v71
	v_add_f32_e32 v13, v17, v13
	v_dual_mul_f32 v73, v83, v73 :: v_dual_fmac_f32 v96, v98, v78
	v_dual_add_f32 v97, v26, v22 :: v_dual_add_f32 v52, v92, v93
	v_fma_f32 v24, -0.5, v54, v87
	v_fma_f32 v23, -0.5, v63, v12
	v_fmamk_f32 v22, v46, 0xbf737871, v8
	v_fmac_f32_e32 v8, 0x3f737871, v46
	v_fma_f32 v26, -0.5, v91, v87
	v_fma_f32 v25, -0.5, v31, v12
	v_dual_sub_f32 v31, v42, v60 :: v_dual_fmac_f32 v16, 0xbf167918, v57
	v_dual_sub_f32 v54, v65, v90 :: v_dual_fmac_f32 v95, v75, v80
	v_dual_fmac_f32 v8, 0xbf167918, v47 :: v_dual_add_f32 v75, v27, v45
	v_add_f32_e32 v29, v29, v35
	v_fmamk_f32 v17, v47, 0x3f737871, v4
	v_dual_add_f32 v35, v61, v62 :: v_dual_sub_f32 v92, v27, v43
	v_fmamk_f32 v21, v57, 0x3f737871, v7
	v_dual_fmac_f32 v7, 0xbf737871, v57 :: v_dual_fmac_f32 v68, v83, v72
	v_fmac_f32_e32 v4, 0xbf737871, v47
	v_fmac_f32_e32 v3, 0x3f737871, v55
	v_dual_add_f32 v49, v67, v69 :: v_dual_fmac_f32 v94, v100, v70
	v_sub_f32_e32 v62, v43, v66
	v_add_f32_e32 v63, v60, v90
	v_dual_sub_f32 v67, v43, v27 :: v_dual_fmac_f32 v4, 0xbf167918, v46
	v_sub_f32_e32 v69, v66, v45
	v_fma_f32 v20, v20, v78, -v79
	v_sub_f32_e32 v78, v42, v65
	v_fma_f32 v79, v18, v80, -v81
	v_dual_sub_f32 v81, v60, v42 :: v_dual_fmamk_f32 v18, v51, 0x3f737871, v25
	v_dual_sub_f32 v87, v90, v65 :: v_dual_add_f32 v54, v31, v54
	v_add_f32_e32 v91, v42, v65
	v_dual_sub_f32 v93, v45, v66 :: v_dual_add_f32 v12, v32, v97
	v_add_f32_e32 v83, v43, v66
	v_dual_add_f32 v42, v42, v86 :: v_dual_add_f32 v43, v11, v43
	v_fma_f32 v70, v15, v70, -v71
	v_fma_f32 v71, v14, v72, -v73
	v_dual_sub_f32 v72, v94, v68 :: v_dual_add_f32 v13, v19, v13
	v_dual_fmamk_f32 v14, v64, 0x3f737871, v23 :: v_dual_add_f32 v41, v41, v34
	v_fmac_f32_e32 v16, 0x3e9e377a, v53
	v_fmamk_f32 v15, v58, 0xbf737871, v24
	v_fmac_f32_e32 v24, 0x3f737871, v58
	v_fma_f32 v31, -0.5, v75, v11
	v_fmamk_f32 v19, v59, 0xbf737871, v26
	v_dual_fmac_f32 v26, 0x3f737871, v59 :: v_dual_sub_f32 v61, v27, v45
	v_fmac_f32_e32 v22, 0x3f167918, v47
	v_sub_f32_e32 v80, v60, v90
	v_fmac_f32_e32 v17, 0x3f167918, v46
	v_fmac_f32_e32 v21, 0xbf167918, v55
	v_dual_fmac_f32 v7, 0x3f167918, v55 :: v_dual_add_f32 v46, v28, v33
	v_fma_f32 v32, -0.5, v63, v86
	v_dual_add_f32 v63, v92, v93 :: v_dual_fmac_f32 v4, 0x3e9e377a, v44
	v_fma_f32 v33, -0.5, v83, v11
	v_dual_add_f32 v11, v60, v42 :: v_dual_fmac_f32 v14, 0x3f167918, v51
	v_dual_add_f32 v47, v43, v27 :: v_dual_fmac_f32 v26, 0xbf167918, v58
	v_add_f32_e32 v60, v89, v96
	s_delay_alu instid0(VALU_DEP_3) | instskip(NEXT) | instid1(VALU_DEP_3)
	v_dual_add_f32 v93, v71, v20 :: v_dual_fmac_f32 v14, 0x3e9e377a, v35
	v_dual_add_f32 v99, v70, v79 :: v_dual_fmac_f32 v26, 0x3e9e377a, v49
	v_dual_fmac_f32 v3, 0x3f167918, v57 :: v_dual_sub_f32 v98, v71, v70
	v_fmac_f32_e32 v25, 0xbf737871, v51
	v_fmac_f32_e32 v23, 0xbf737871, v64
	v_dual_add_f32 v55, v67, v69 :: v_dual_fmac_f32 v22, 0x3e9e377a, v48
	v_dual_add_f32 v57, v81, v87 :: v_dual_fmac_f32 v8, 0x3e9e377a, v48
	v_fma_f32 v34, -0.5, v91, v86
	v_dual_add_f32 v67, v10, v20 :: v_dual_fmac_f32 v24, 0x3f167918, v59
	v_dual_sub_f32 v69, v95, v96 :: v_dual_fmamk_f32 v42, v80, 0x3f737871, v33
	v_dual_sub_f32 v73, v20, v71 :: v_dual_fmac_f32 v18, 0xbf167918, v64
	v_add_f32_e32 v75, v68, v96
	v_dual_sub_f32 v83, v96, v95 :: v_dual_add_f32 v48, v47, v45
	v_dual_sub_f32 v86, v68, v94 :: v_dual_add_f32 v87, v94, v95
	v_dual_sub_f32 v91, v79, v20 :: v_dual_sub_f32 v92, v70, v71
	v_sub_f32_e32 v96, v96, v68
	v_dual_sub_f32 v20, v20, v79 :: v_dual_sub_f32 v97, v95, v94
	v_dual_fmac_f32 v17, 0x3e9e377a, v44 :: v_dual_fmac_f32 v24, 0x3e9e377a, v29
	v_dual_fmac_f32 v21, 0x3e9e377a, v50 :: v_dual_fmac_f32 v18, 0x3e9e377a, v52
	v_dual_fmac_f32 v7, 0x3e9e377a, v50 :: v_dual_add_f32 v28, v40, v41
	v_fmamk_f32 v41, v62, 0x3f737871, v32
	v_fmamk_f32 v40, v78, 0xbf737871, v31
	v_fmac_f32_e32 v15, 0xbf167918, v59
	v_fmac_f32_e32 v32, 0xbf737871, v62
	v_dual_add_f32 v27, v56, v46 :: v_dual_add_f32 v46, v90, v11
	v_add_f32_e32 v50, v95, v60
	v_fma_f32 v44, -0.5, v93, v10
	s_delay_alu instid0(VALU_DEP_4)
	v_fmac_f32_e32 v32, 0xbf167918, v61
	v_fma_f32 v10, -0.5, v99, v10
	v_dual_fmac_f32 v23, 0xbf167918, v51 :: v_dual_fmac_f32 v42, 0xbf167918, v78
	v_dual_add_f32 v51, v79, v67 :: v_dual_add_f32 v20, v98, v20
	v_fmac_f32_e32 v31, 0x3f737871, v78
	v_fmac_f32_e32 v40, 0xbf167918, v80
	s_delay_alu instid0(VALU_DEP_4)
	v_dual_fmac_f32 v15, 0x3e9e377a, v29 :: v_dual_fmac_f32 v42, 0x3e9e377a, v63
	v_dual_add_f32 v47, v65, v46 :: v_dual_add_f32 v46, v66, v48
	v_dual_fmamk_f32 v48, v97, 0x3f737871, v44 :: v_dual_add_f32 v29, v94, v50
	v_fmamk_f32 v50, v96, 0xbf737871, v10
	v_dual_fmac_f32 v3, 0x3e9e377a, v53 :: v_dual_fmac_f32 v40, 0x3e9e377a, v55
	v_fma_f32 v11, -0.5, v87, v89
	v_fmac_f32_e32 v10, 0x3f737871, v96
	v_dual_fmac_f32 v48, 0xbf167918, v96 :: v_dual_add_f32 v53, v68, v29
	v_dual_fmac_f32 v50, 0xbf167918, v97 :: v_dual_add_f32 v29, v82, v106
	v_fmac_f32_e32 v23, 0x3e9e377a, v35
	v_add_f32_e32 v35, v70, v51
	v_dual_fmac_f32 v19, 0x3f167918, v58 :: v_dual_add_f32 v58, v86, v83
	v_add_f32_e32 v59, v92, v91
	v_dual_fmac_f32 v25, 0x3f167918, v64 :: v_dual_fmac_f32 v10, 0x3f167918, v97
	v_fmamk_f32 v51, v73, 0x3f737871, v11
	v_dual_sub_f32 v81, v79, v70 :: v_dual_add_f32 v56, v72, v69
	s_delay_alu instid0(VALU_DEP_3)
	v_fmac_f32_e32 v25, 0x3e9e377a, v52
	v_fmac_f32_e32 v50, 0x3e9e377a, v20
	;; [unrolled: 1-line block ×3, first 2 shown]
	v_add_f32_e32 v52, v71, v35
	v_sub_f32_e32 v20, v103, v0
	v_sub_f32_e32 v35, v105, v104
	v_fmamk_f32 v43, v61, 0xbf737871, v34
	v_fmac_f32_e32 v34, 0x3f737871, v61
	v_fma_f32 v45, -0.5, v75, v89
	v_dual_fmac_f32 v33, 0xbf737871, v80 :: v_dual_fmac_f32 v44, 0xbf737871, v97
	v_dual_fmac_f32 v19, 0x3e9e377a, v49 :: v_dual_fmac_f32 v32, 0x3e9e377a, v54
	v_fmac_f32_e32 v41, 0x3f167918, v61
	v_fma_f32 v29, -0.5, v29, v9
	s_delay_alu instid0(VALU_DEP_4)
	v_fmac_f32_e32 v44, 0x3f167918, v96
	v_dual_add_f32 v20, v20, v35 :: v_dual_fmac_f32 v43, 0x3f167918, v62
	v_dual_add_f32 v0, v0, v88 :: v_dual_fmamk_f32 v49, v81, 0xbf737871, v45
	v_fmac_f32_e32 v45, 0x3f737871, v81
	v_dual_fmac_f32 v41, 0x3e9e377a, v54 :: v_dual_fmac_f32 v48, 0x3e9e377a, v59
	v_sub_f32_e32 v35, v5, v82
	v_fmamk_f32 v54, v109, 0x3f737871, v29
	s_delay_alu instid0(VALU_DEP_4)
	v_dual_fmac_f32 v45, 0xbf167918, v73 :: v_dual_add_f32 v0, v103, v0
	v_fmac_f32_e32 v49, 0x3f167918, v73
	v_fmac_f32_e32 v34, 0xbf167918, v62
	;; [unrolled: 1-line block ×6, first 2 shown]
	v_dual_fmac_f32 v45, 0x3e9e377a, v56 :: v_dual_sub_f32 v56, v74, v106
	v_dual_fmac_f32 v43, 0x3e9e377a, v57 :: v_dual_fmac_f32 v44, 0x3e9e377a, v59
	v_fmac_f32_e32 v34, 0x3e9e377a, v57
	v_mul_hi_u32 v57, 0xdca01dcb, v77
	v_dual_fmac_f32 v11, 0xbf737871, v73 :: v_dual_add_f32 v0, v105, v0
	v_fmac_f32_e32 v31, 0x3e9e377a, v55
	v_fmamk_f32 v55, v76, 0xbf737871, v30
	v_fmac_f32_e32 v30, 0x3f737871, v76
	v_add_f32_e32 v35, v35, v56
	v_fmac_f32_e32 v29, 0x3f167918, v108
	v_fmac_f32_e32 v11, 0xbf167918, v81
	;; [unrolled: 1-line block ×4, first 2 shown]
	v_sub_nc_u32_e32 v56, v77, v57
	v_fmac_f32_e32 v54, 0x3e9e377a, v35
	v_fmac_f32_e32 v29, 0x3e9e377a, v35
	v_add_f32_e32 v9, v9, v82
	v_add_nc_u32_e32 v35, 55, v77
	v_fmac_f32_e32 v55, 0x3e9e377a, v20
	v_fmac_f32_e32 v30, 0x3e9e377a, v20
	v_lshrrev_b32_e32 v20, 1, v56
	v_add_f32_e32 v5, v9, v5
	v_mul_hi_u32 v9, 0xdca01dcb, v35
	v_fmac_f32_e32 v33, 0x3f167918, v78
	v_fmac_f32_e32 v51, 0x3f167918, v81
	v_dual_fmac_f32 v11, 0x3e9e377a, v58 :: v_dual_add_nc_u32 v20, v20, v57
	v_add_f32_e32 v57, v104, v0
	v_lshlrev_b64 v[0:1], 3, v[1:2]
	v_add_f32_e32 v5, v5, v74
	v_sub_nc_u32_e32 v60, v35, v9
	v_lshrrev_b32_e32 v20, 8, v20
	s_delay_alu instid0(VALU_DEP_3) | instskip(NEXT) | instid1(VALU_DEP_3)
	v_dual_fmac_f32 v33, 0x3e9e377a, v63 :: v_dual_add_f32 v56, v106, v5
	v_lshrrev_b32_e32 v2, 1, v60
	v_fmac_f32_e32 v51, 0x3e9e377a, v58
	v_lshlrev_b64 v[58:59], 3, v[84:85]
	v_mul_u32_u24_e32 v20, 0x113, v20
	s_delay_alu instid0(VALU_DEP_4) | instskip(SKIP_1) | instid1(VALU_DEP_3)
	v_add_nc_u32_e32 v2, v2, v9
	v_add_nc_u32_e32 v9, 0x6e, v77
	v_sub_nc_u32_e32 v5, v77, v20
	v_add_co_u32 v20, vcc_lo, s6, v58
	v_add_co_ci_u32_e32 v58, vcc_lo, s7, v59, vcc_lo
	s_delay_alu instid0(VALU_DEP_3) | instskip(NEXT) | instid1(VALU_DEP_3)
	v_lshlrev_b32_e32 v5, 3, v5
	v_add_co_u32 v20, vcc_lo, v20, v0
	v_lshrrev_b32_e32 v2, 8, v2
	s_delay_alu instid0(VALU_DEP_4) | instskip(NEXT) | instid1(VALU_DEP_3)
	v_add_co_ci_u32_e32 v62, vcc_lo, v58, v1, vcc_lo
	v_add_co_u32 v0, vcc_lo, v20, v5
	s_delay_alu instid0(VALU_DEP_3) | instskip(NEXT) | instid1(VALU_DEP_3)
	v_mul_u32_u24_e32 v5, 0x113, v2
	v_add_co_ci_u32_e32 v1, vcc_lo, 0, v62, vcc_lo
	s_delay_alu instid0(VALU_DEP_3) | instskip(NEXT) | instid1(VALU_DEP_3)
	v_add_co_u32 v58, vcc_lo, 0x1000, v0
	v_sub_nc_u32_e32 v5, v35, v5
	s_delay_alu instid0(VALU_DEP_3) | instskip(SKIP_1) | instid1(VALU_DEP_3)
	v_add_co_ci_u32_e32 v59, vcc_lo, 0, v1, vcc_lo
	v_add_co_u32 v60, vcc_lo, 0x2000, v0
	v_mad_u32_u24 v5, 0x55f, v2, v5
	v_mul_hi_u32 v2, 0xdca01dcb, v9
	v_add_co_ci_u32_e32 v61, vcc_lo, 0, v1, vcc_lo
	s_clause 0x4
	global_store_b64 v[0:1], v[56:57], off
	global_store_b64 v[0:1], v[36:37], off offset:2200
	global_store_b64 v[58:59], v[29:30], off offset:304
	;; [unrolled: 1-line block ×4, first 2 shown]
	v_lshlrev_b64 v[0:1], 3, v[5:6]
	v_dual_mov_b32 v30, v6 :: v_dual_add_nc_u32 v29, 0x113, v5
	v_add_nc_u32_e32 v35, 0x226, v5
	v_sub_nc_u32_e32 v37, v9, v2
	v_mov_b32_e32 v36, v6
	v_mov_b32_e32 v38, v6
	v_lshlrev_b64 v[29:30], 3, v[29:30]
	v_add_co_u32 v0, vcc_lo, v20, v0
	v_lshrrev_b32_e32 v39, 1, v37
	v_add_nc_u32_e32 v37, 0x339, v5
	v_add_nc_u32_e32 v5, 0x44c, v5
	v_lshlrev_b64 v[35:36], 3, v[35:36]
	v_add_co_ci_u32_e32 v1, vcc_lo, v62, v1, vcc_lo
	v_add_nc_u32_e32 v2, v39, v2
	s_delay_alu instid0(VALU_DEP_4) | instskip(SKIP_2) | instid1(VALU_DEP_4)
	v_lshlrev_b64 v[54:55], 3, v[5:6]
	v_add_nc_u32_e32 v39, 0xa5, v77
	v_add_co_u32 v29, vcc_lo, v20, v29
	v_lshrrev_b32_e32 v2, 8, v2
	v_lshlrev_b64 v[37:38], 3, v[37:38]
	v_add_co_ci_u32_e32 v30, vcc_lo, v62, v30, vcc_lo
	v_add_co_u32 v35, vcc_lo, v20, v35
	s_delay_alu instid0(VALU_DEP_4) | instskip(SKIP_2) | instid1(VALU_DEP_3)
	v_mul_u32_u24_e32 v5, 0x113, v2
	v_add_co_ci_u32_e32 v36, vcc_lo, v62, v36, vcc_lo
	v_add_co_u32 v37, vcc_lo, v20, v37
	v_sub_nc_u32_e32 v5, v9, v5
	v_add_co_ci_u32_e32 v38, vcc_lo, v62, v38, vcc_lo
	v_add_co_u32 v54, vcc_lo, v20, v54
	s_delay_alu instid0(VALU_DEP_3)
	v_mad_u32_u24 v5, 0x55f, v2, v5
	v_mul_hi_u32 v2, 0xdca01dcb, v39
	v_add_co_ci_u32_e32 v55, vcc_lo, v62, v55, vcc_lo
	s_clause 0x4
	global_store_b64 v[0:1], v[52:53], off
	global_store_b64 v[29:30], v[10:11], off
	;; [unrolled: 1-line block ×5, first 2 shown]
	v_lshlrev_b64 v[0:1], 3, v[5:6]
	v_add_nc_u32_e32 v9, 0x113, v5
	v_add_nc_u32_e32 v29, 0x226, v5
	;; [unrolled: 1-line block ×3, first 2 shown]
	v_sub_nc_u32_e32 v11, v39, v2
	v_dual_mov_b32 v10, v6 :: v_dual_add_nc_u32 v5, 0x44c, v5
	v_mov_b32_e32 v30, v6
	v_mov_b32_e32 v36, v6
	s_delay_alu instid0(VALU_DEP_4) | instskip(NEXT) | instid1(VALU_DEP_4)
	v_lshrrev_b32_e32 v11, 1, v11
	v_lshlrev_b64 v[37:38], 3, v[5:6]
	v_lshlrev_b64 v[9:10], 3, v[9:10]
	v_add_co_u32 v0, vcc_lo, v20, v0
	s_delay_alu instid0(VALU_DEP_4) | instskip(SKIP_3) | instid1(VALU_DEP_4)
	v_add_nc_u32_e32 v2, v11, v2
	v_add_nc_u32_e32 v11, 0xdc, v77
	v_lshlrev_b64 v[29:30], 3, v[29:30]
	v_add_co_ci_u32_e32 v1, vcc_lo, v62, v1, vcc_lo
	v_lshrrev_b32_e32 v2, 8, v2
	v_add_co_u32 v9, vcc_lo, v20, v9
	v_lshlrev_b64 v[35:36], 3, v[35:36]
	v_add_co_ci_u32_e32 v10, vcc_lo, v62, v10, vcc_lo
	s_delay_alu instid0(VALU_DEP_4) | instskip(SKIP_2) | instid1(VALU_DEP_3)
	v_mul_u32_u24_e32 v5, 0x113, v2
	v_add_co_u32 v29, vcc_lo, v20, v29
	v_add_co_ci_u32_e32 v30, vcc_lo, v62, v30, vcc_lo
	v_sub_nc_u32_e32 v5, v39, v5
	v_mul_hi_u32 v39, 0xdca01dcb, v11
	v_add_co_u32 v35, vcc_lo, v20, v35
	v_add_co_ci_u32_e32 v36, vcc_lo, v62, v36, vcc_lo
	s_delay_alu instid0(VALU_DEP_4)
	v_mad_u32_u24 v5, 0x55f, v2, v5
	v_add_co_u32 v37, vcc_lo, v20, v37
	v_sub_nc_u32_e32 v2, v11, v39
	v_add_co_ci_u32_e32 v38, vcc_lo, v62, v38, vcc_lo
	s_clause 0x4
	global_store_b64 v[0:1], v[46:47], off
	global_store_b64 v[9:10], v[31:32], off
	;; [unrolled: 1-line block ×5, first 2 shown]
	v_add_nc_u32_e32 v9, 0x113, v5
	v_lshrrev_b32_e32 v2, 1, v2
	v_mov_b32_e32 v10, v6
	v_lshlrev_b64 v[0:1], 3, v[5:6]
	v_dual_mov_b32 v30, v6 :: v_dual_add_nc_u32 v29, 0x226, v5
	s_delay_alu instid0(VALU_DEP_4)
	v_add_nc_u32_e32 v2, v2, v39
	v_add_nc_u32_e32 v31, 0x339, v5
	;; [unrolled: 1-line block ×3, first 2 shown]
	v_lshlrev_b64 v[9:10], 3, v[9:10]
	v_mov_b32_e32 v32, v6
	v_lshrrev_b32_e32 v2, 8, v2
	v_add_co_u32 v0, vcc_lo, v20, v0
	v_lshlrev_b64 v[29:30], 3, v[29:30]
	v_lshlrev_b64 v[33:34], 3, v[5:6]
	s_delay_alu instid0(VALU_DEP_4) | instskip(SKIP_2) | instid1(VALU_DEP_3)
	v_mul_u32_u24_e32 v35, 0x113, v2
	v_add_co_ci_u32_e32 v1, vcc_lo, v62, v1, vcc_lo
	v_add_co_u32 v9, vcc_lo, v20, v9
	v_sub_nc_u32_e32 v5, v11, v35
	v_lshlrev_b64 v[31:32], 3, v[31:32]
	v_add_co_ci_u32_e32 v10, vcc_lo, v62, v10, vcc_lo
	v_add_co_u32 v29, vcc_lo, v20, v29
	s_delay_alu instid0(VALU_DEP_4) | instskip(SKIP_3) | instid1(VALU_DEP_4)
	v_mad_u32_u24 v5, 0x55f, v2, v5
	v_add_co_ci_u32_e32 v30, vcc_lo, v62, v30, vcc_lo
	v_add_co_u32 v31, vcc_lo, v20, v31
	v_add_co_ci_u32_e32 v32, vcc_lo, v62, v32, vcc_lo
	v_dual_mov_b32 v36, v6 :: v_dual_add_nc_u32 v35, 0x113, v5
	s_clause 0x3
	global_store_b64 v[0:1], v[27:28], off
	global_store_b64 v[9:10], v[14:15], off
	;; [unrolled: 1-line block ×4, first 2 shown]
	v_lshlrev_b64 v[0:1], 3, v[5:6]
	v_dual_mov_b32 v15, v6 :: v_dual_add_nc_u32 v14, 0x226, v5
	v_add_co_u32 v33, vcc_lo, v20, v33
	v_lshlrev_b64 v[9:10], 3, v[35:36]
	v_dual_mov_b32 v19, v6 :: v_dual_add_nc_u32 v18, 0x339, v5
	v_add_co_ci_u32_e32 v34, vcc_lo, v62, v34, vcc_lo
	v_add_co_u32 v0, vcc_lo, v20, v0
	v_lshlrev_b64 v[14:15], 3, v[14:15]
	v_add_nc_u32_e32 v5, 0x44c, v5
	v_add_co_ci_u32_e32 v1, vcc_lo, v62, v1, vcc_lo
	v_add_co_u32 v9, vcc_lo, v20, v9
	v_lshlrev_b64 v[18:19], 3, v[18:19]
	v_add_co_ci_u32_e32 v10, vcc_lo, v62, v10, vcc_lo
	v_add_co_u32 v14, vcc_lo, v20, v14
	v_lshlrev_b64 v[5:6], 3, v[5:6]
	v_add_co_ci_u32_e32 v15, vcc_lo, v62, v15, vcc_lo
	v_add_co_u32 v18, vcc_lo, v20, v18
	v_add_co_ci_u32_e32 v19, vcc_lo, v62, v19, vcc_lo
	s_delay_alu instid0(VALU_DEP_4)
	v_add_co_u32 v5, vcc_lo, v20, v5
	v_add_co_ci_u32_e32 v6, vcc_lo, v62, v6, vcc_lo
	s_clause 0x5
	global_store_b64 v[33:34], v[23:24], off
	global_store_b64 v[0:1], v[12:13], off
	;; [unrolled: 1-line block ×6, first 2 shown]
.LBB0_21:
	s_nop 0
	s_sendmsg sendmsg(MSG_DEALLOC_VGPRS)
	s_endpgm
	.section	.rodata,"a",@progbits
	.p2align	6, 0x0
	.amdhsa_kernel fft_rtc_fwd_len1375_factors_11_5_5_5_wgs_55_tpt_55_halfLds_sp_op_CI_CI_unitstride_sbrr_dirReg
		.amdhsa_group_segment_fixed_size 0
		.amdhsa_private_segment_fixed_size 0
		.amdhsa_kernarg_size 104
		.amdhsa_user_sgpr_count 15
		.amdhsa_user_sgpr_dispatch_ptr 0
		.amdhsa_user_sgpr_queue_ptr 0
		.amdhsa_user_sgpr_kernarg_segment_ptr 1
		.amdhsa_user_sgpr_dispatch_id 0
		.amdhsa_user_sgpr_private_segment_size 0
		.amdhsa_wavefront_size32 1
		.amdhsa_uses_dynamic_stack 0
		.amdhsa_enable_private_segment 0
		.amdhsa_system_sgpr_workgroup_id_x 1
		.amdhsa_system_sgpr_workgroup_id_y 0
		.amdhsa_system_sgpr_workgroup_id_z 0
		.amdhsa_system_sgpr_workgroup_info 0
		.amdhsa_system_vgpr_workitem_id 0
		.amdhsa_next_free_vgpr 119
		.amdhsa_next_free_sgpr 27
		.amdhsa_reserve_vcc 1
		.amdhsa_float_round_mode_32 0
		.amdhsa_float_round_mode_16_64 0
		.amdhsa_float_denorm_mode_32 3
		.amdhsa_float_denorm_mode_16_64 3
		.amdhsa_dx10_clamp 1
		.amdhsa_ieee_mode 1
		.amdhsa_fp16_overflow 0
		.amdhsa_workgroup_processor_mode 1
		.amdhsa_memory_ordered 1
		.amdhsa_forward_progress 0
		.amdhsa_shared_vgpr_count 0
		.amdhsa_exception_fp_ieee_invalid_op 0
		.amdhsa_exception_fp_denorm_src 0
		.amdhsa_exception_fp_ieee_div_zero 0
		.amdhsa_exception_fp_ieee_overflow 0
		.amdhsa_exception_fp_ieee_underflow 0
		.amdhsa_exception_fp_ieee_inexact 0
		.amdhsa_exception_int_div_zero 0
	.end_amdhsa_kernel
	.text
.Lfunc_end0:
	.size	fft_rtc_fwd_len1375_factors_11_5_5_5_wgs_55_tpt_55_halfLds_sp_op_CI_CI_unitstride_sbrr_dirReg, .Lfunc_end0-fft_rtc_fwd_len1375_factors_11_5_5_5_wgs_55_tpt_55_halfLds_sp_op_CI_CI_unitstride_sbrr_dirReg
                                        ; -- End function
	.section	.AMDGPU.csdata,"",@progbits
; Kernel info:
; codeLenInByte = 18964
; NumSgprs: 29
; NumVgprs: 119
; ScratchSize: 0
; MemoryBound: 0
; FloatMode: 240
; IeeeMode: 1
; LDSByteSize: 0 bytes/workgroup (compile time only)
; SGPRBlocks: 3
; VGPRBlocks: 14
; NumSGPRsForWavesPerEU: 29
; NumVGPRsForWavesPerEU: 119
; Occupancy: 12
; WaveLimiterHint : 1
; COMPUTE_PGM_RSRC2:SCRATCH_EN: 0
; COMPUTE_PGM_RSRC2:USER_SGPR: 15
; COMPUTE_PGM_RSRC2:TRAP_HANDLER: 0
; COMPUTE_PGM_RSRC2:TGID_X_EN: 1
; COMPUTE_PGM_RSRC2:TGID_Y_EN: 0
; COMPUTE_PGM_RSRC2:TGID_Z_EN: 0
; COMPUTE_PGM_RSRC2:TIDIG_COMP_CNT: 0
	.text
	.p2alignl 7, 3214868480
	.fill 96, 4, 3214868480
	.type	__hip_cuid_8b9356e0ea53c258,@object ; @__hip_cuid_8b9356e0ea53c258
	.section	.bss,"aw",@nobits
	.globl	__hip_cuid_8b9356e0ea53c258
__hip_cuid_8b9356e0ea53c258:
	.byte	0                               ; 0x0
	.size	__hip_cuid_8b9356e0ea53c258, 1

	.ident	"AMD clang version 19.0.0git (https://github.com/RadeonOpenCompute/llvm-project roc-6.4.0 25133 c7fe45cf4b819c5991fe208aaa96edf142730f1d)"
	.section	".note.GNU-stack","",@progbits
	.addrsig
	.addrsig_sym __hip_cuid_8b9356e0ea53c258
	.amdgpu_metadata
---
amdhsa.kernels:
  - .args:
      - .actual_access:  read_only
        .address_space:  global
        .offset:         0
        .size:           8
        .value_kind:     global_buffer
      - .offset:         8
        .size:           8
        .value_kind:     by_value
      - .actual_access:  read_only
        .address_space:  global
        .offset:         16
        .size:           8
        .value_kind:     global_buffer
      - .actual_access:  read_only
        .address_space:  global
        .offset:         24
        .size:           8
        .value_kind:     global_buffer
      - .actual_access:  read_only
        .address_space:  global
        .offset:         32
        .size:           8
        .value_kind:     global_buffer
      - .offset:         40
        .size:           8
        .value_kind:     by_value
      - .actual_access:  read_only
        .address_space:  global
        .offset:         48
        .size:           8
        .value_kind:     global_buffer
      - .actual_access:  read_only
        .address_space:  global
        .offset:         56
        .size:           8
        .value_kind:     global_buffer
      - .offset:         64
        .size:           4
        .value_kind:     by_value
      - .actual_access:  read_only
        .address_space:  global
        .offset:         72
        .size:           8
        .value_kind:     global_buffer
      - .actual_access:  read_only
        .address_space:  global
        .offset:         80
        .size:           8
        .value_kind:     global_buffer
      - .actual_access:  read_only
        .address_space:  global
        .offset:         88
        .size:           8
        .value_kind:     global_buffer
      - .actual_access:  write_only
        .address_space:  global
        .offset:         96
        .size:           8
        .value_kind:     global_buffer
    .group_segment_fixed_size: 0
    .kernarg_segment_align: 8
    .kernarg_segment_size: 104
    .language:       OpenCL C
    .language_version:
      - 2
      - 0
    .max_flat_workgroup_size: 55
    .name:           fft_rtc_fwd_len1375_factors_11_5_5_5_wgs_55_tpt_55_halfLds_sp_op_CI_CI_unitstride_sbrr_dirReg
    .private_segment_fixed_size: 0
    .sgpr_count:     29
    .sgpr_spill_count: 0
    .symbol:         fft_rtc_fwd_len1375_factors_11_5_5_5_wgs_55_tpt_55_halfLds_sp_op_CI_CI_unitstride_sbrr_dirReg.kd
    .uniform_work_group_size: 1
    .uses_dynamic_stack: false
    .vgpr_count:     119
    .vgpr_spill_count: 0
    .wavefront_size: 32
    .workgroup_processor_mode: 1
amdhsa.target:   amdgcn-amd-amdhsa--gfx1100
amdhsa.version:
  - 1
  - 2
...

	.end_amdgpu_metadata
